;; amdgpu-corpus repo=ROCm/hipCUB kind=compiled arch=gfx1100 opt=O3
	.text
	.amdgcn_target "amdgcn-amd-amdhsa--gfx1100"
	.amdhsa_code_object_version 6
	.section	.text._Z15sort_key_kernelILj255ELj1ELb1ELb0EN10test_utils16custom_test_typeIhEEEvPT3_jj,"axG",@progbits,_Z15sort_key_kernelILj255ELj1ELb1ELb0EN10test_utils16custom_test_typeIhEEEvPT3_jj,comdat
	.protected	_Z15sort_key_kernelILj255ELj1ELb1ELb0EN10test_utils16custom_test_typeIhEEEvPT3_jj ; -- Begin function _Z15sort_key_kernelILj255ELj1ELb1ELb0EN10test_utils16custom_test_typeIhEEEvPT3_jj
	.globl	_Z15sort_key_kernelILj255ELj1ELb1ELb0EN10test_utils16custom_test_typeIhEEEvPT3_jj
	.p2align	8
	.type	_Z15sort_key_kernelILj255ELj1ELb1ELb0EN10test_utils16custom_test_typeIhEEEvPT3_jj,@function
_Z15sort_key_kernelILj255ELj1ELb1ELb0EN10test_utils16custom_test_typeIhEEEvPT3_jj: ; @_Z15sort_key_kernelILj255ELj1ELb1ELb0EN10test_utils16custom_test_typeIhEEEvPT3_jj
; %bb.0:
	s_load_b128 s[16:19], s[0:1], 0x0
	s_mov_b32 s1, 0
	s_mul_i32 s0, s15, 0xff
	v_lshlrev_b32_e32 v17, 1, v0
	s_lshl_b64 s[0:1], s[0:1], 1
	v_mbcnt_lo_u32_b32 v18, -1, 0
	v_lshlrev_b32_e32 v11, 5, v0
	v_and_b32_e32 v19, 0xe0, v0
	v_lshrrev_b32_e32 v14, 3, v0
	v_lshlrev_b32_e32 v12, 2, v0
	s_waitcnt lgkmcnt(0)
	s_add_u32 s16, s16, s0
	s_addc_u32 s17, s17, s1
	s_cmp_lg_u32 s18, 0
	global_load_u16 v15, v17, s[16:17]
	s_cselect_b32 s2, -1, 0
	s_cmp_lg_u32 s19, 16
	v_cmp_gt_u32_e64 s0, 8, v0
	s_cselect_b32 s3, -1, 0
	v_cmp_lt_u32_e64 s1, 31, v0
	s_or_b32 s3, s2, s3
	v_cmp_gt_u32_e64 s2, 0x3fc, v0
	s_and_b32 vcc_lo, exec_lo, s3
	v_cmp_gt_u32_e64 s3, 0x2fd, v0
	s_waitcnt vmcnt(0)
	v_lshrrev_b16 v16, 8, v15
	s_cbranch_vccz .LBB0_21
; %bb.1:
	v_add_nc_u32_e32 v3, -1, v18
	v_and_b32_e32 v1, 15, v18
	v_min_u32_e32 v2, 0xdf, v19
	v_sub_nc_u32_e32 v13, v12, v17
	v_dual_mov_b32 v21, 0 :: v_dual_and_b32 v4, 16, v18
	v_cmp_gt_i32_e32 vcc_lo, 0, v3
	v_cmp_eq_u32_e64 s4, 0, v1
	v_cmp_lt_u32_e64 s5, 1, v1
	v_cmp_lt_u32_e64 s6, 3, v1
	v_dual_mov_b32 v23, v16 :: v_dual_add_nc_u32 v2, 31, v2
	v_dual_cndmask_b32 v3, v3, v18 :: v_dual_add_nc_u32 v20, v13, v17
	v_cmp_lt_u32_e64 s7, 7, v1
	v_and_b32_e32 v1, 7, v18
	v_cmp_eq_u32_e64 s8, 0, v4
	v_cmp_eq_u32_e64 s9, v2, v0
	v_lshlrev_b32_e32 v9, 2, v3
	v_cmp_eq_u32_e64 s10, 0, v18
	v_and_b32_e32 v10, 28, v14
	v_cmp_eq_u32_e64 s11, 0, v1
	v_cmp_lt_u32_e64 s12, 1, v1
	v_cmp_lt_u32_e64 s13, 3, v1
	v_mov_b32_e32 v1, v15
	v_cmp_gt_u32_e64 s14, 0x1fe, v0
	v_cmp_gt_u32_e64 s15, 0xff, v0
	v_add_nc_u32_e32 v22, 0x7f8, v20
	s_sub_i32 s20, 0, s18
	s_sub_i32 s21, s19, s18
	s_branch .LBB0_3
.LBB0_2:                                ;   in Loop: Header=BB0_3 Depth=1
	s_barrier
	buffer_gl0_inv
	ds_store_b16 v3, v2
	s_waitcnt lgkmcnt(0)
	s_barrier
	buffer_gl0_inv
	ds_load_u16 v1, v13
	s_add_i32 s20, s20, -4
	s_add_i32 s21, s21, -4
	s_waitcnt lgkmcnt(0)
	s_barrier
	buffer_gl0_inv
	v_lshrrev_b16 v23, 8, v1
	s_cbranch_execz .LBB0_20
.LBB0_3:                                ; =>This Inner Loop Header: Depth=1
	ds_store_2addr_b32 v20, v21, v21 offset1:255
	ds_store_2addr_b32 v22, v21, v21 offset1:255
	s_and_saveexec_b32 s22, s2
	s_cbranch_execz .LBB0_8
; %bb.4:                                ;   in Loop: Header=BB0_3 Depth=1
	ds_store_b32 v20, v21 offset:4080
	s_and_b32 exec_lo, exec_lo, s3
	s_cbranch_execz .LBB0_8
; %bb.5:                                ;   in Loop: Header=BB0_3 Depth=1
	ds_store_b32 v20, v21 offset:5100
	s_and_b32 exec_lo, exec_lo, s14
	;; [unrolled: 4-line block ×3, first 2 shown]
	s_cbranch_execz .LBB0_8
; %bb.7:                                ;   in Loop: Header=BB0_3 Depth=1
	ds_store_b32 v20, v21 offset:7140
.LBB0_8:                                ;   in Loop: Header=BB0_3 Depth=1
	s_or_b32 exec_lo, exec_lo, s22
	s_min_u32 s22, s21, 4
	v_mov_b32_e32 v2, 0
	s_add_i32 s22, s22, s18
	s_cmp_gt_i32 s18, 7
	s_cselect_b32 s23, -1, 0
	s_cmp_lt_i32 s22, 1
	s_cselect_b32 s24, -1, 0
	s_delay_alu instid0(SALU_CYCLE_1) | instskip(NEXT) | instid1(SALU_CYCLE_1)
	s_or_b32 s23, s23, s24
	s_and_b32 vcc_lo, exec_lo, s23
	s_cbranch_vccnz .LBB0_10
; %bb.9:                                ;   in Loop: Header=BB0_3 Depth=1
	s_max_i32 s23, s18, 0
	s_max_i32 s24, s20, 0
	s_add_i32 s25, s23, s20
	v_and_b32_e32 v2, 0xff, v23
	s_sub_i32 s25, s25, s24
	s_delay_alu instid0(SALU_CYCLE_1) | instskip(NEXT) | instid1(VALU_DEP_1)
	s_add_i32 s25, s25, s22
	v_lshrrev_b32_e32 v2, s23, v2
	s_min_i32 s25, s25, 8
	s_delay_alu instid0(SALU_CYCLE_1)
	s_sub_i32 s23, s25, s23
	s_delay_alu instid0(VALU_DEP_1) | instid1(SALU_CYCLE_1)
	v_bfe_u32 v2, v2, 0, s23
	s_delay_alu instid0(VALU_DEP_1)
	v_lshlrev_b32_e32 v2, s24, v2
.LBB0_10:                               ;   in Loop: Header=BB0_3 Depth=1
	s_cmp_gt_i32 s18, 15
	v_and_b32_e32 v24, 0xff, v1
	s_cselect_b32 s23, -1, 0
	s_cmp_lt_i32 s22, 9
	s_cselect_b32 s22, -1, 0
	s_delay_alu instid0(SALU_CYCLE_1) | instskip(NEXT) | instid1(SALU_CYCLE_1)
	s_or_b32 s22, s23, s22
	s_and_b32 vcc_lo, exec_lo, s22
	s_cbranch_vccnz .LBB0_12
; %bb.11:                               ;   in Loop: Header=BB0_3 Depth=1
	s_add_i32 s22, s19, s20
	s_max_i32 s23, s18, 8
	s_min_u32 s22, s22, 4
	s_add_i32 s24, s20, 8
	s_add_i32 s23, s23, -8
	s_max_i32 s24, s24, 0
	s_add_i32 s22, s23, s22
	v_lshrrev_b32_e32 v1, s23, v24
	s_sub_i32 s22, s22, s24
	s_delay_alu instid0(SALU_CYCLE_1) | instskip(NEXT) | instid1(SALU_CYCLE_1)
	s_min_i32 s22, s22, 8
	s_sub_i32 s22, s22, s23
	s_delay_alu instid0(VALU_DEP_1) | instid1(SALU_CYCLE_1)
	v_bfe_u32 v1, v1, 0, s22
	s_delay_alu instid0(VALU_DEP_1)
	v_lshl_or_b32 v2, v1, s24, v2
.LBB0_12:                               ;   in Loop: Header=BB0_3 Depth=1
	s_delay_alu instid0(VALU_DEP_1) | instskip(SKIP_1) | instid1(VALU_DEP_2)
	v_and_b32_e32 v1, 7, v2
	v_lshrrev_b32_e32 v2, 3, v2
	v_mul_u32_u24_e32 v1, 0xff, v1
	s_delay_alu instid0(VALU_DEP_1) | instskip(NEXT) | instid1(VALU_DEP_1)
	v_add_lshl_u32 v1, v1, v0, 1
	v_add_lshl_u32 v25, v1, v2, 1
	ds_load_u16 v26, v25
	s_waitcnt lgkmcnt(0)
	v_add_nc_u16 v1, v26, 1
	ds_store_b16 v25, v1
	s_waitcnt lgkmcnt(0)
	s_barrier
	buffer_gl0_inv
	ds_load_2addr_b64 v[5:8], v11 offset1:1
	ds_load_2addr_b64 v[1:4], v11 offset0:2 offset1:3
	s_waitcnt lgkmcnt(1)
	v_add_nc_u32_e32 v27, v6, v5
	s_delay_alu instid0(VALU_DEP_1) | instskip(SKIP_1) | instid1(VALU_DEP_1)
	v_add3_u32 v27, v27, v7, v8
	s_waitcnt lgkmcnt(0)
	v_add3_u32 v27, v27, v1, v2
	s_delay_alu instid0(VALU_DEP_1) | instskip(NEXT) | instid1(VALU_DEP_1)
	v_add3_u32 v4, v27, v3, v4
	v_mov_b32_dpp v27, v4 row_shr:1 row_mask:0xf bank_mask:0xf
	s_delay_alu instid0(VALU_DEP_1) | instskip(NEXT) | instid1(VALU_DEP_1)
	v_cndmask_b32_e64 v27, v27, 0, s4
	v_add_nc_u32_e32 v4, v27, v4
	s_delay_alu instid0(VALU_DEP_1) | instskip(NEXT) | instid1(VALU_DEP_1)
	v_mov_b32_dpp v27, v4 row_shr:2 row_mask:0xf bank_mask:0xf
	v_cndmask_b32_e64 v27, 0, v27, s5
	s_delay_alu instid0(VALU_DEP_1) | instskip(NEXT) | instid1(VALU_DEP_1)
	v_add_nc_u32_e32 v4, v4, v27
	v_mov_b32_dpp v27, v4 row_shr:4 row_mask:0xf bank_mask:0xf
	s_delay_alu instid0(VALU_DEP_1) | instskip(NEXT) | instid1(VALU_DEP_1)
	v_cndmask_b32_e64 v27, 0, v27, s6
	v_add_nc_u32_e32 v4, v4, v27
	s_delay_alu instid0(VALU_DEP_1) | instskip(NEXT) | instid1(VALU_DEP_1)
	v_mov_b32_dpp v27, v4 row_shr:8 row_mask:0xf bank_mask:0xf
	v_cndmask_b32_e64 v27, 0, v27, s7
	s_delay_alu instid0(VALU_DEP_1) | instskip(SKIP_3) | instid1(VALU_DEP_1)
	v_add_nc_u32_e32 v4, v4, v27
	ds_swizzle_b32 v27, v4 offset:swizzle(BROADCAST,32,15)
	s_waitcnt lgkmcnt(0)
	v_cndmask_b32_e64 v27, v27, 0, s8
	v_add_nc_u32_e32 v4, v4, v27
	s_and_saveexec_b32 s22, s9
	s_cbranch_execz .LBB0_14
; %bb.13:                               ;   in Loop: Header=BB0_3 Depth=1
	ds_store_b32 v10, v4 offset:8160
.LBB0_14:                               ;   in Loop: Header=BB0_3 Depth=1
	s_or_b32 exec_lo, exec_lo, s22
	s_waitcnt lgkmcnt(0)
	s_barrier
	buffer_gl0_inv
	s_and_saveexec_b32 s22, s0
	s_cbranch_execz .LBB0_16
; %bb.15:                               ;   in Loop: Header=BB0_3 Depth=1
	ds_load_b32 v27, v12 offset:8160
	s_waitcnt lgkmcnt(0)
	v_mov_b32_dpp v28, v27 row_shr:1 row_mask:0xf bank_mask:0xf
	s_delay_alu instid0(VALU_DEP_1) | instskip(NEXT) | instid1(VALU_DEP_1)
	v_cndmask_b32_e64 v28, v28, 0, s11
	v_add_nc_u32_e32 v27, v28, v27
	s_delay_alu instid0(VALU_DEP_1) | instskip(NEXT) | instid1(VALU_DEP_1)
	v_mov_b32_dpp v28, v27 row_shr:2 row_mask:0xf bank_mask:0xf
	v_cndmask_b32_e64 v28, 0, v28, s12
	s_delay_alu instid0(VALU_DEP_1) | instskip(NEXT) | instid1(VALU_DEP_1)
	v_add_nc_u32_e32 v27, v27, v28
	v_mov_b32_dpp v28, v27 row_shr:4 row_mask:0xf bank_mask:0xf
	s_delay_alu instid0(VALU_DEP_1) | instskip(NEXT) | instid1(VALU_DEP_1)
	v_cndmask_b32_e64 v28, 0, v28, s13
	v_add_nc_u32_e32 v27, v27, v28
	ds_store_b32 v12, v27 offset:8160
.LBB0_16:                               ;   in Loop: Header=BB0_3 Depth=1
	s_or_b32 exec_lo, exec_lo, s22
	v_mov_b32_e32 v27, 0
	s_waitcnt lgkmcnt(0)
	s_barrier
	buffer_gl0_inv
	s_and_saveexec_b32 s22, s1
	s_cbranch_execz .LBB0_18
; %bb.17:                               ;   in Loop: Header=BB0_3 Depth=1
	ds_load_b32 v27, v10 offset:8156
.LBB0_18:                               ;   in Loop: Header=BB0_3 Depth=1
	s_or_b32 exec_lo, exec_lo, s22
	s_waitcnt lgkmcnt(0)
	v_add_nc_u32_e32 v4, v27, v4
	ds_load_b32 v28, v21 offset:8188
	s_add_i32 s18, s18, 4
	s_delay_alu instid0(SALU_CYCLE_1) | instskip(SKIP_3) | instid1(VALU_DEP_1)
	s_cmp_ge_u32 s18, s19
	ds_bpermute_b32 v4, v9, v4
	s_waitcnt lgkmcnt(0)
	v_cndmask_b32_e64 v4, v4, v27, s10
	v_lshl_add_u32 v4, v28, 16, v4
	s_delay_alu instid0(VALU_DEP_1) | instskip(NEXT) | instid1(VALU_DEP_1)
	v_add_nc_u32_e32 v5, v4, v5
	v_add_nc_u32_e32 v6, v5, v6
	s_delay_alu instid0(VALU_DEP_1) | instskip(NEXT) | instid1(VALU_DEP_1)
	v_add_nc_u32_e32 v7, v6, v7
	v_add_nc_u32_e32 v27, v7, v8
	;; [unrolled: 3-line block ×3, first 2 shown]
	s_delay_alu instid0(VALU_DEP_1)
	v_add_nc_u32_e32 v2, v1, v3
	v_lshlrev_b16 v3, 8, v23
	ds_store_2addr_b64 v11, v[4:5], v[6:7] offset1:1
	ds_store_2addr_b64 v11, v[27:28], v[1:2] offset0:2 offset1:3
	s_waitcnt lgkmcnt(0)
	s_barrier
	buffer_gl0_inv
	ds_load_u16 v1, v25
	v_and_b32_e32 v2, 0xffff, v26
	s_waitcnt lgkmcnt(0)
	s_delay_alu instid0(VALU_DEP_1) | instskip(SKIP_1) | instid1(VALU_DEP_2)
	v_lshlrev_b32_e32 v4, 1, v2
	v_or_b32_e32 v2, v3, v24
	v_lshl_add_u32 v3, v1, 1, v4
	s_cbranch_scc0 .LBB0_2
; %bb.19:
                                        ; implicit-def: $vgpr1
                                        ; implicit-def: $vgpr23
                                        ; implicit-def: $sgpr20
                                        ; implicit-def: $sgpr21
.LBB0_20:
	s_barrier
	buffer_gl0_inv
	ds_store_b16 v3, v2
	s_waitcnt lgkmcnt(0)
	s_barrier
	v_add_co_u32 v9, s1, s16, v17
	s_delay_alu instid0(VALU_DEP_1)
	v_add_co_ci_u32_e64 v10, null, s17, 0, s1
	s_branch .LBB0_67
.LBB0_21:
                                        ; implicit-def: $vgpr13
	v_add_co_u32 v9, s1, s16, v17
	s_delay_alu instid0(VALU_DEP_1)
	v_add_co_ci_u32_e64 v10, null, s17, 0, s1
	s_cbranch_execz .LBB0_67
; %bb.22:
	v_mad_i32_i24 v13, 0xffffffe4, v0, v11
	v_mov_b32_e32 v1, 0
	v_cmp_gt_u32_e32 vcc_lo, 0x3fc, v0
	s_delay_alu instid0(VALU_DEP_3)
	v_add_nc_u32_e32 v2, 0x7f8, v13
	ds_store_2addr_b32 v13, v1, v1 offset1:255
	ds_store_2addr_b32 v2, v1, v1 offset1:255
	s_and_saveexec_b32 s1, vcc_lo
	s_cbranch_execz .LBB0_27
; %bb.23:
	v_cmp_gt_u32_e64 s0, 0x2fd, v0
	ds_store_b32 v13, v1 offset:4080
	s_and_b32 exec_lo, exec_lo, s0
	s_cbranch_execz .LBB0_27
; %bb.24:
	v_mov_b32_e32 v1, 0
	v_cmp_gt_u32_e64 s0, 0x1fe, v0
	ds_store_b32 v13, v1 offset:5100
	s_and_b32 exec_lo, exec_lo, s0
	s_cbranch_execz .LBB0_27
; %bb.25:
	v_cmp_gt_u32_e64 s0, 0xff, v0
	ds_store_b32 v13, v1 offset:6120
	s_and_b32 exec_lo, exec_lo, s0
	s_cbranch_execz .LBB0_27
; %bb.26:
	v_mov_b32_e32 v1, 0
	ds_store_b32 v13, v1 offset:7140
.LBB0_27:
	s_or_b32 exec_lo, exec_lo, s1
	v_and_b32_e32 v1, 15, v16
	v_min_u32_e32 v19, 0xdf, v19
	v_and_b32_e32 v24, 16, v18
	v_and_b32_e32 v14, 28, v14
	s_delay_alu instid0(VALU_DEP_4) | instskip(NEXT) | instid1(VALU_DEP_4)
	v_and_b32_e32 v1, 0xffff, v1
	v_add_nc_u32_e32 v19, 31, v19
	s_delay_alu instid0(VALU_DEP_4) | instskip(NEXT) | instid1(VALU_DEP_3)
	v_cmp_eq_u32_e64 s8, 0, v24
	v_and_b32_e32 v2, 7, v1
	v_lshrrev_b32_e32 v1, 2, v1
	s_delay_alu instid0(VALU_DEP_4) | instskip(NEXT) | instid1(VALU_DEP_3)
	v_cmp_eq_u32_e64 s7, v19, v0
	v_mad_u32_u24 v2, 0xff, v2, v0
	s_delay_alu instid0(VALU_DEP_3) | instskip(NEXT) | instid1(VALU_DEP_1)
	v_and_b32_e32 v1, 2, v1
	v_lshl_or_b32 v20, v2, 2, v1
	ds_load_u16 v21, v20
	s_waitcnt lgkmcnt(0)
	v_add_nc_u16 v1, v21, 1
	ds_store_b16 v20, v1
	s_waitcnt lgkmcnt(0)
	s_barrier
	buffer_gl0_inv
	ds_load_2addr_b64 v[5:8], v11 offset1:1
	ds_load_2addr_b64 v[1:4], v11 offset0:2 offset1:3
	s_waitcnt lgkmcnt(1)
	v_add_nc_u32_e32 v22, v6, v5
	s_delay_alu instid0(VALU_DEP_1) | instskip(SKIP_1) | instid1(VALU_DEP_1)
	v_add3_u32 v22, v22, v7, v8
	s_waitcnt lgkmcnt(0)
	v_add3_u32 v22, v22, v1, v2
	s_delay_alu instid0(VALU_DEP_1) | instskip(SKIP_1) | instid1(VALU_DEP_2)
	v_add3_u32 v4, v22, v3, v4
	v_and_b32_e32 v22, 15, v18
	v_mov_b32_dpp v23, v4 row_shr:1 row_mask:0xf bank_mask:0xf
	s_delay_alu instid0(VALU_DEP_2) | instskip(SKIP_3) | instid1(VALU_DEP_4)
	v_cmp_eq_u32_e64 s1, 0, v22
	v_cmp_lt_u32_e64 s3, 1, v22
	v_cmp_lt_u32_e64 s4, 3, v22
	;; [unrolled: 1-line block ×3, first 2 shown]
	v_cndmask_b32_e64 v23, v23, 0, s1
	s_delay_alu instid0(VALU_DEP_1) | instskip(NEXT) | instid1(VALU_DEP_1)
	v_add_nc_u32_e32 v4, v23, v4
	v_mov_b32_dpp v23, v4 row_shr:2 row_mask:0xf bank_mask:0xf
	s_delay_alu instid0(VALU_DEP_1) | instskip(NEXT) | instid1(VALU_DEP_1)
	v_cndmask_b32_e64 v23, 0, v23, s3
	v_add_nc_u32_e32 v4, v4, v23
	s_delay_alu instid0(VALU_DEP_1) | instskip(NEXT) | instid1(VALU_DEP_1)
	v_mov_b32_dpp v23, v4 row_shr:4 row_mask:0xf bank_mask:0xf
	v_cndmask_b32_e64 v23, 0, v23, s4
	s_delay_alu instid0(VALU_DEP_1) | instskip(NEXT) | instid1(VALU_DEP_1)
	v_add_nc_u32_e32 v4, v4, v23
	v_mov_b32_dpp v23, v4 row_shr:8 row_mask:0xf bank_mask:0xf
	s_delay_alu instid0(VALU_DEP_1) | instskip(SKIP_1) | instid1(VALU_DEP_2)
	v_cndmask_b32_e64 v22, 0, v23, s5
	v_bfe_i32 v23, v18, 4, 1
	v_add_nc_u32_e32 v4, v4, v22
	ds_swizzle_b32 v22, v4 offset:swizzle(BROADCAST,32,15)
	s_waitcnt lgkmcnt(0)
	v_and_b32_e32 v22, v23, v22
	s_delay_alu instid0(VALU_DEP_1)
	v_add_nc_u32_e32 v19, v4, v22
	s_and_saveexec_b32 s0, s7
	s_cbranch_execz .LBB0_29
; %bb.28:
	ds_store_b32 v14, v19 offset:8160
.LBB0_29:
	s_or_b32 exec_lo, exec_lo, s0
	v_and_b32_e32 v4, 7, v18
	v_sub_nc_u32_e32 v13, v13, v17
	v_cmp_gt_u32_e64 s9, 8, v0
	s_waitcnt lgkmcnt(0)
	s_barrier
	v_cmp_lt_u32_e64 s2, 1, v4
	v_cmp_eq_u32_e64 s6, 0, v4
	v_cmp_lt_u32_e64 s0, 3, v4
	v_add_nc_u32_e32 v17, v13, v17
	buffer_gl0_inv
	s_and_saveexec_b32 s10, s9
	s_cbranch_execz .LBB0_31
; %bb.30:
	ds_load_b32 v4, v17 offset:8160
	s_waitcnt lgkmcnt(0)
	v_mov_b32_dpp v22, v4 row_shr:1 row_mask:0xf bank_mask:0xf
	s_delay_alu instid0(VALU_DEP_1) | instskip(NEXT) | instid1(VALU_DEP_1)
	v_cndmask_b32_e64 v22, v22, 0, s6
	v_add_nc_u32_e32 v4, v22, v4
	s_delay_alu instid0(VALU_DEP_1) | instskip(NEXT) | instid1(VALU_DEP_1)
	v_mov_b32_dpp v22, v4 row_shr:2 row_mask:0xf bank_mask:0xf
	v_cndmask_b32_e64 v22, 0, v22, s2
	s_delay_alu instid0(VALU_DEP_1) | instskip(NEXT) | instid1(VALU_DEP_1)
	v_add_nc_u32_e32 v4, v4, v22
	v_mov_b32_dpp v22, v4 row_shr:4 row_mask:0xf bank_mask:0xf
	s_delay_alu instid0(VALU_DEP_1) | instskip(NEXT) | instid1(VALU_DEP_1)
	v_cndmask_b32_e64 v22, 0, v22, s0
	v_add_nc_u32_e32 v4, v4, v22
	ds_store_b32 v17, v4 offset:8160
.LBB0_31:
	s_or_b32 exec_lo, exec_lo, s10
	v_cmp_lt_u32_e64 s10, 31, v0
	v_mov_b32_e32 v4, 0
	v_mov_b32_e32 v22, 0
	s_waitcnt lgkmcnt(0)
	s_barrier
	buffer_gl0_inv
	s_and_saveexec_b32 s11, s10
	s_cbranch_execz .LBB0_33
; %bb.32:
	ds_load_b32 v22, v14 offset:8156
.LBB0_33:
	s_or_b32 exec_lo, exec_lo, s11
	v_add_nc_u32_e32 v23, -1, v18
	s_waitcnt lgkmcnt(0)
	v_add_nc_u32_e32 v24, v22, v19
	s_delay_alu instid0(VALU_DEP_2) | instskip(NEXT) | instid1(VALU_DEP_1)
	v_cmp_gt_i32_e64 s11, 0, v23
	v_cndmask_b32_e64 v23, v23, v18, s11
	v_cmp_eq_u32_e64 s11, 0, v18
	s_delay_alu instid0(VALU_DEP_2)
	v_lshlrev_b32_e32 v19, 2, v23
	ds_bpermute_b32 v23, v19, v24
	ds_load_b32 v24, v4 offset:8188
	s_waitcnt lgkmcnt(1)
	v_cndmask_b32_e64 v18, v23, v22, s11
	s_waitcnt lgkmcnt(0)
	s_delay_alu instid0(VALU_DEP_1) | instskip(NEXT) | instid1(VALU_DEP_1)
	v_lshl_add_u32 v22, v24, 16, v18
	v_add_nc_u32_e32 v23, v22, v5
	s_delay_alu instid0(VALU_DEP_1) | instskip(NEXT) | instid1(VALU_DEP_1)
	v_add_nc_u32_e32 v5, v23, v6
	v_add_nc_u32_e32 v6, v5, v7
	s_delay_alu instid0(VALU_DEP_1) | instskip(NEXT) | instid1(VALU_DEP_1)
	v_add_nc_u32_e32 v7, v6, v8
	;; [unrolled: 3-line block ×3, first 2 shown]
	v_add_nc_u32_e32 v2, v1, v3
	v_and_b32_e32 v3, 0xff, v15
	ds_store_2addr_b64 v11, v[22:23], v[5:6] offset1:1
	ds_store_2addr_b64 v11, v[7:8], v[1:2] offset0:2 offset1:3
	s_waitcnt lgkmcnt(0)
	s_barrier
	buffer_gl0_inv
	ds_load_u16 v1, v20
	v_and_b32_e32 v2, 0xffff, v21
	v_lshlrev_b16 v5, 8, v16
	s_waitcnt lgkmcnt(0)
	s_barrier
	buffer_gl0_inv
	v_lshlrev_b32_e32 v2, 1, v2
	v_or_b32_e32 v3, v5, v3
	s_delay_alu instid0(VALU_DEP_2)
	v_lshl_add_u32 v1, v1, 1, v2
	ds_store_b16 v1, v3
	s_waitcnt lgkmcnt(0)
	s_barrier
	buffer_gl0_inv
	ds_load_u16 v15, v13
	v_add_nc_u32_e32 v1, 0x7f8, v12
	s_waitcnt lgkmcnt(0)
	s_barrier
	buffer_gl0_inv
	ds_store_2addr_b32 v12, v4, v4 offset1:255
	ds_store_2addr_b32 v1, v4, v4 offset1:255
	s_and_saveexec_b32 s13, vcc_lo
	s_cbranch_execz .LBB0_38
; %bb.34:
	v_mov_b32_e32 v1, 0
	v_cmp_gt_u32_e64 s12, 0x2fd, v0
	ds_store_b32 v12, v1 offset:4080
	s_and_b32 exec_lo, exec_lo, s12
	s_cbranch_execz .LBB0_38
; %bb.35:
	v_cmp_gt_u32_e64 s12, 0x1fe, v0
	ds_store_b32 v12, v1 offset:5100
	s_and_b32 exec_lo, exec_lo, s12
	s_cbranch_execz .LBB0_38
; %bb.36:
	v_mov_b32_e32 v1, 0
	v_cmp_gt_u32_e64 s12, 0xff, v0
	ds_store_b32 v12, v1 offset:6120
	s_and_b32 exec_lo, exec_lo, s12
	s_cbranch_execz .LBB0_38
; %bb.37:
	ds_store_b32 v12, v1 offset:7140
.LBB0_38:
	s_or_b32 exec_lo, exec_lo, s13
	v_lshrrev_b16 v1, 12, v15
	s_delay_alu instid0(VALU_DEP_1) | instskip(NEXT) | instid1(VALU_DEP_1)
	v_and_b32_e32 v1, 0xffff, v1
	v_and_b32_e32 v2, 7, v1
	v_lshrrev_b32_e32 v1, 2, v1
	s_delay_alu instid0(VALU_DEP_2) | instskip(NEXT) | instid1(VALU_DEP_2)
	v_mad_u32_u24 v2, 0xff, v2, v0
	v_and_b32_e32 v1, 2, v1
	s_delay_alu instid0(VALU_DEP_1)
	v_lshl_or_b32 v16, v2, 2, v1
	ds_load_u16 v18, v16
	s_waitcnt lgkmcnt(0)
	v_add_nc_u16 v1, v18, 1
	ds_store_b16 v16, v1
	s_waitcnt lgkmcnt(0)
	s_barrier
	buffer_gl0_inv
	ds_load_2addr_b64 v[5:8], v11 offset1:1
	ds_load_2addr_b64 v[1:4], v11 offset0:2 offset1:3
	s_waitcnt lgkmcnt(1)
	v_add_nc_u32_e32 v20, v6, v5
	s_delay_alu instid0(VALU_DEP_1) | instskip(SKIP_1) | instid1(VALU_DEP_1)
	v_add3_u32 v20, v20, v7, v8
	s_waitcnt lgkmcnt(0)
	v_add3_u32 v20, v20, v1, v2
	s_delay_alu instid0(VALU_DEP_1) | instskip(NEXT) | instid1(VALU_DEP_1)
	v_add3_u32 v4, v20, v3, v4
	v_mov_b32_dpp v20, v4 row_shr:1 row_mask:0xf bank_mask:0xf
	s_delay_alu instid0(VALU_DEP_1) | instskip(NEXT) | instid1(VALU_DEP_1)
	v_cndmask_b32_e64 v20, v20, 0, s1
	v_add_nc_u32_e32 v4, v20, v4
	s_delay_alu instid0(VALU_DEP_1) | instskip(NEXT) | instid1(VALU_DEP_1)
	v_mov_b32_dpp v20, v4 row_shr:2 row_mask:0xf bank_mask:0xf
	v_cndmask_b32_e64 v20, 0, v20, s3
	s_delay_alu instid0(VALU_DEP_1) | instskip(NEXT) | instid1(VALU_DEP_1)
	v_add_nc_u32_e32 v4, v4, v20
	v_mov_b32_dpp v20, v4 row_shr:4 row_mask:0xf bank_mask:0xf
	s_delay_alu instid0(VALU_DEP_1) | instskip(NEXT) | instid1(VALU_DEP_1)
	v_cndmask_b32_e64 v20, 0, v20, s4
	v_add_nc_u32_e32 v4, v4, v20
	s_delay_alu instid0(VALU_DEP_1) | instskip(NEXT) | instid1(VALU_DEP_1)
	v_mov_b32_dpp v20, v4 row_shr:8 row_mask:0xf bank_mask:0xf
	v_cndmask_b32_e64 v20, 0, v20, s5
	s_delay_alu instid0(VALU_DEP_1) | instskip(SKIP_3) | instid1(VALU_DEP_1)
	v_add_nc_u32_e32 v4, v4, v20
	ds_swizzle_b32 v20, v4 offset:swizzle(BROADCAST,32,15)
	s_waitcnt lgkmcnt(0)
	v_cndmask_b32_e64 v20, v20, 0, s8
	v_add_nc_u32_e32 v20, v4, v20
	s_and_saveexec_b32 s12, s7
	s_cbranch_execz .LBB0_40
; %bb.39:
	ds_store_b32 v14, v20 offset:8160
.LBB0_40:
	s_or_b32 exec_lo, exec_lo, s12
	s_waitcnt lgkmcnt(0)
	s_barrier
	buffer_gl0_inv
	s_and_saveexec_b32 s12, s9
	s_cbranch_execz .LBB0_42
; %bb.41:
	ds_load_b32 v4, v17 offset:8160
	s_waitcnt lgkmcnt(0)
	v_mov_b32_dpp v21, v4 row_shr:1 row_mask:0xf bank_mask:0xf
	s_delay_alu instid0(VALU_DEP_1) | instskip(NEXT) | instid1(VALU_DEP_1)
	v_cndmask_b32_e64 v21, v21, 0, s6
	v_add_nc_u32_e32 v4, v21, v4
	s_delay_alu instid0(VALU_DEP_1) | instskip(NEXT) | instid1(VALU_DEP_1)
	v_mov_b32_dpp v21, v4 row_shr:2 row_mask:0xf bank_mask:0xf
	v_cndmask_b32_e64 v21, 0, v21, s2
	s_delay_alu instid0(VALU_DEP_1) | instskip(NEXT) | instid1(VALU_DEP_1)
	v_add_nc_u32_e32 v4, v4, v21
	v_mov_b32_dpp v21, v4 row_shr:4 row_mask:0xf bank_mask:0xf
	s_delay_alu instid0(VALU_DEP_1) | instskip(NEXT) | instid1(VALU_DEP_1)
	v_cndmask_b32_e64 v21, 0, v21, s0
	v_add_nc_u32_e32 v4, v4, v21
	ds_store_b32 v17, v4 offset:8160
.LBB0_42:
	s_or_b32 exec_lo, exec_lo, s12
	v_lshrrev_b16 v21, 8, v15
	v_mov_b32_e32 v4, 0
	v_mov_b32_e32 v22, 0
	s_waitcnt lgkmcnt(0)
	s_barrier
	buffer_gl0_inv
	s_and_saveexec_b32 s12, s10
	s_cbranch_execz .LBB0_44
; %bb.43:
	ds_load_b32 v22, v14 offset:8156
.LBB0_44:
	s_or_b32 exec_lo, exec_lo, s12
	s_waitcnt lgkmcnt(0)
	v_add_nc_u32_e32 v20, v22, v20
	ds_load_b32 v23, v4 offset:8188
	ds_bpermute_b32 v20, v19, v20
	s_waitcnt lgkmcnt(0)
	v_cndmask_b32_e64 v20, v20, v22, s11
	s_delay_alu instid0(VALU_DEP_1) | instskip(NEXT) | instid1(VALU_DEP_1)
	v_lshl_add_u32 v22, v23, 16, v20
	v_add_nc_u32_e32 v23, v22, v5
	s_delay_alu instid0(VALU_DEP_1) | instskip(NEXT) | instid1(VALU_DEP_1)
	v_add_nc_u32_e32 v5, v23, v6
	v_add_nc_u32_e32 v6, v5, v7
	s_delay_alu instid0(VALU_DEP_1) | instskip(NEXT) | instid1(VALU_DEP_1)
	v_add_nc_u32_e32 v7, v6, v8
	;; [unrolled: 3-line block ×3, first 2 shown]
	v_add_nc_u32_e32 v2, v1, v3
	v_and_b32_e32 v3, 0xff, v15
	ds_store_2addr_b64 v11, v[22:23], v[5:6] offset1:1
	ds_store_2addr_b64 v11, v[7:8], v[1:2] offset0:2 offset1:3
	s_waitcnt lgkmcnt(0)
	s_barrier
	buffer_gl0_inv
	ds_load_u16 v1, v16
	v_and_b32_e32 v2, 0xffff, v18
	v_lshlrev_b16 v5, 8, v21
	s_waitcnt lgkmcnt(0)
	s_barrier
	buffer_gl0_inv
	v_lshlrev_b32_e32 v2, 1, v2
	v_or_b32_e32 v3, v5, v3
	s_delay_alu instid0(VALU_DEP_2)
	v_lshl_add_u32 v1, v1, 1, v2
	ds_store_b16 v1, v3
	s_waitcnt lgkmcnt(0)
	s_barrier
	buffer_gl0_inv
	ds_load_u16 v15, v13
	v_add_nc_u32_e32 v1, 0x7f8, v12
	s_waitcnt lgkmcnt(0)
	s_barrier
	buffer_gl0_inv
	ds_store_2addr_b32 v12, v4, v4 offset1:255
	ds_store_2addr_b32 v1, v4, v4 offset1:255
	s_and_saveexec_b32 s13, vcc_lo
	s_cbranch_execz .LBB0_49
; %bb.45:
	v_mov_b32_e32 v1, 0
	v_cmp_gt_u32_e64 s12, 0x2fd, v0
	ds_store_b32 v12, v1 offset:4080
	s_and_b32 exec_lo, exec_lo, s12
	s_cbranch_execz .LBB0_49
; %bb.46:
	v_cmp_gt_u32_e64 s12, 0x1fe, v0
	ds_store_b32 v12, v1 offset:5100
	s_and_b32 exec_lo, exec_lo, s12
	s_cbranch_execz .LBB0_49
; %bb.47:
	v_mov_b32_e32 v1, 0
	v_cmp_gt_u32_e64 s12, 0xff, v0
	ds_store_b32 v12, v1 offset:6120
	s_and_b32 exec_lo, exec_lo, s12
	s_cbranch_execz .LBB0_49
; %bb.48:
	ds_store_b32 v12, v1 offset:7140
.LBB0_49:
	s_or_b32 exec_lo, exec_lo, s13
	v_and_b32_e32 v1, 7, v15
	v_lshrrev_b32_e32 v2, 2, v15
	s_delay_alu instid0(VALU_DEP_2) | instskip(NEXT) | instid1(VALU_DEP_2)
	v_mad_u32_u24 v1, 0xff, v1, v0
	v_and_b32_e32 v2, 2, v2
	s_delay_alu instid0(VALU_DEP_1)
	v_lshl_or_b32 v16, v1, 2, v2
	ds_load_u16 v18, v16
	s_waitcnt lgkmcnt(0)
	v_add_nc_u16 v1, v18, 1
	ds_store_b16 v16, v1
	s_waitcnt lgkmcnt(0)
	s_barrier
	buffer_gl0_inv
	ds_load_2addr_b64 v[5:8], v11 offset1:1
	ds_load_2addr_b64 v[1:4], v11 offset0:2 offset1:3
	s_waitcnt lgkmcnt(1)
	v_add_nc_u32_e32 v20, v6, v5
	s_delay_alu instid0(VALU_DEP_1) | instskip(SKIP_1) | instid1(VALU_DEP_1)
	v_add3_u32 v20, v20, v7, v8
	s_waitcnt lgkmcnt(0)
	v_add3_u32 v20, v20, v1, v2
	s_delay_alu instid0(VALU_DEP_1) | instskip(NEXT) | instid1(VALU_DEP_1)
	v_add3_u32 v4, v20, v3, v4
	v_mov_b32_dpp v20, v4 row_shr:1 row_mask:0xf bank_mask:0xf
	s_delay_alu instid0(VALU_DEP_1) | instskip(NEXT) | instid1(VALU_DEP_1)
	v_cndmask_b32_e64 v20, v20, 0, s1
	v_add_nc_u32_e32 v4, v20, v4
	s_delay_alu instid0(VALU_DEP_1) | instskip(NEXT) | instid1(VALU_DEP_1)
	v_mov_b32_dpp v20, v4 row_shr:2 row_mask:0xf bank_mask:0xf
	v_cndmask_b32_e64 v20, 0, v20, s3
	s_delay_alu instid0(VALU_DEP_1) | instskip(NEXT) | instid1(VALU_DEP_1)
	v_add_nc_u32_e32 v4, v4, v20
	v_mov_b32_dpp v20, v4 row_shr:4 row_mask:0xf bank_mask:0xf
	s_delay_alu instid0(VALU_DEP_1) | instskip(NEXT) | instid1(VALU_DEP_1)
	v_cndmask_b32_e64 v20, 0, v20, s4
	v_add_nc_u32_e32 v4, v4, v20
	s_delay_alu instid0(VALU_DEP_1) | instskip(NEXT) | instid1(VALU_DEP_1)
	v_mov_b32_dpp v20, v4 row_shr:8 row_mask:0xf bank_mask:0xf
	v_cndmask_b32_e64 v20, 0, v20, s5
	s_delay_alu instid0(VALU_DEP_1) | instskip(SKIP_3) | instid1(VALU_DEP_1)
	v_add_nc_u32_e32 v4, v4, v20
	ds_swizzle_b32 v20, v4 offset:swizzle(BROADCAST,32,15)
	s_waitcnt lgkmcnt(0)
	v_cndmask_b32_e64 v20, v20, 0, s8
	v_add_nc_u32_e32 v21, v4, v20
	s_and_saveexec_b32 s12, s7
	s_cbranch_execz .LBB0_51
; %bb.50:
	ds_store_b32 v14, v21 offset:8160
.LBB0_51:
	s_or_b32 exec_lo, exec_lo, s12
	s_waitcnt lgkmcnt(0)
	s_barrier
	buffer_gl0_inv
	s_and_saveexec_b32 s12, s9
	s_cbranch_execz .LBB0_53
; %bb.52:
	ds_load_b32 v4, v17 offset:8160
	s_waitcnt lgkmcnt(0)
	v_mov_b32_dpp v20, v4 row_shr:1 row_mask:0xf bank_mask:0xf
	s_delay_alu instid0(VALU_DEP_1) | instskip(NEXT) | instid1(VALU_DEP_1)
	v_cndmask_b32_e64 v20, v20, 0, s6
	v_add_nc_u32_e32 v4, v20, v4
	s_delay_alu instid0(VALU_DEP_1) | instskip(NEXT) | instid1(VALU_DEP_1)
	v_mov_b32_dpp v20, v4 row_shr:2 row_mask:0xf bank_mask:0xf
	v_cndmask_b32_e64 v20, 0, v20, s2
	s_delay_alu instid0(VALU_DEP_1) | instskip(NEXT) | instid1(VALU_DEP_1)
	v_add_nc_u32_e32 v4, v4, v20
	v_mov_b32_dpp v20, v4 row_shr:4 row_mask:0xf bank_mask:0xf
	s_delay_alu instid0(VALU_DEP_1) | instskip(NEXT) | instid1(VALU_DEP_1)
	v_cndmask_b32_e64 v20, 0, v20, s0
	v_add_nc_u32_e32 v4, v4, v20
	ds_store_b32 v17, v4 offset:8160
.LBB0_53:
	s_or_b32 exec_lo, exec_lo, s12
	v_and_b32_e32 v20, 0xff, v15
	v_mov_b32_e32 v4, 0
	v_mov_b32_e32 v22, 0
	s_waitcnt lgkmcnt(0)
	s_barrier
	buffer_gl0_inv
	s_and_saveexec_b32 s12, s10
	s_cbranch_execz .LBB0_55
; %bb.54:
	ds_load_b32 v22, v14 offset:8156
.LBB0_55:
	s_or_b32 exec_lo, exec_lo, s12
	s_waitcnt lgkmcnt(0)
	v_add_nc_u32_e32 v21, v22, v21
	ds_load_b32 v23, v4 offset:8188
	ds_bpermute_b32 v21, v19, v21
	s_waitcnt lgkmcnt(0)
	v_cndmask_b32_e64 v21, v21, v22, s11
	s_delay_alu instid0(VALU_DEP_1) | instskip(NEXT) | instid1(VALU_DEP_1)
	v_lshl_add_u32 v21, v23, 16, v21
	v_add_nc_u32_e32 v22, v21, v5
	s_delay_alu instid0(VALU_DEP_1) | instskip(NEXT) | instid1(VALU_DEP_1)
	v_add_nc_u32_e32 v5, v22, v6
	v_add_nc_u32_e32 v6, v5, v7
	s_delay_alu instid0(VALU_DEP_1) | instskip(NEXT) | instid1(VALU_DEP_1)
	v_add_nc_u32_e32 v7, v6, v8
	;; [unrolled: 3-line block ×3, first 2 shown]
	v_add_nc_u32_e32 v2, v1, v3
	v_and_b32_e32 v3, 0xffffff00, v15
	ds_store_2addr_b64 v11, v[21:22], v[5:6] offset1:1
	ds_store_2addr_b64 v11, v[7:8], v[1:2] offset0:2 offset1:3
	s_waitcnt lgkmcnt(0)
	s_barrier
	buffer_gl0_inv
	ds_load_u16 v1, v16
	v_and_b32_e32 v2, 0xffff, v18
	v_or_b32_e32 v3, v3, v20
	s_waitcnt lgkmcnt(0)
	s_barrier
	buffer_gl0_inv
	v_lshlrev_b32_e32 v2, 1, v2
	s_delay_alu instid0(VALU_DEP_1)
	v_lshl_add_u32 v1, v1, 1, v2
	ds_store_b16 v1, v3
	s_waitcnt lgkmcnt(0)
	s_barrier
	buffer_gl0_inv
	ds_load_u16 v8, v13
	v_add_nc_u32_e32 v1, 0x7f8, v12
	s_waitcnt lgkmcnt(0)
	s_barrier
	buffer_gl0_inv
	ds_store_2addr_b32 v12, v4, v4 offset1:255
	ds_store_2addr_b32 v1, v4, v4 offset1:255
	s_and_saveexec_b32 s12, vcc_lo
	s_cbranch_execz .LBB0_60
; %bb.56:
	v_mov_b32_e32 v1, 0
	v_cmp_gt_u32_e32 vcc_lo, 0x2fd, v0
	ds_store_b32 v12, v1 offset:4080
	s_and_b32 exec_lo, exec_lo, vcc_lo
	s_cbranch_execz .LBB0_60
; %bb.57:
	v_cmp_gt_u32_e32 vcc_lo, 0x1fe, v0
	ds_store_b32 v12, v1 offset:5100
	s_and_b32 exec_lo, exec_lo, vcc_lo
	s_cbranch_execz .LBB0_60
; %bb.58:
	v_mov_b32_e32 v1, 0
	v_cmp_gt_u32_e32 vcc_lo, 0xff, v0
	ds_store_b32 v12, v1 offset:6120
	s_and_b32 exec_lo, exec_lo, vcc_lo
	s_cbranch_execz .LBB0_60
; %bb.59:
	ds_store_b32 v12, v1 offset:7140
.LBB0_60:
	s_or_b32 exec_lo, exec_lo, s12
	v_and_b32_e32 v12, 0xff, v8
	s_delay_alu instid0(VALU_DEP_1) | instskip(NEXT) | instid1(VALU_DEP_1)
	v_lshrrev_b16 v1, 4, v12
	v_and_b32_e32 v1, 0xffff, v1
	s_delay_alu instid0(VALU_DEP_1) | instskip(SKIP_1) | instid1(VALU_DEP_2)
	v_and_b32_e32 v2, 7, v1
	v_lshrrev_b32_e32 v1, 2, v1
	v_mad_u32_u24 v0, 0xff, v2, v0
	s_delay_alu instid0(VALU_DEP_2) | instskip(NEXT) | instid1(VALU_DEP_1)
	v_and_b32_e32 v1, 2, v1
	v_lshl_or_b32 v15, v0, 2, v1
	ds_load_u16 v16, v15
	s_waitcnt lgkmcnt(0)
	v_add_nc_u16 v0, v16, 1
	ds_store_b16 v15, v0
	s_waitcnt lgkmcnt(0)
	s_barrier
	buffer_gl0_inv
	ds_load_2addr_b64 v[4:7], v11 offset1:1
	ds_load_2addr_b64 v[0:3], v11 offset0:2 offset1:3
	s_waitcnt lgkmcnt(1)
	v_add_nc_u32_e32 v18, v5, v4
	s_delay_alu instid0(VALU_DEP_1) | instskip(SKIP_1) | instid1(VALU_DEP_1)
	v_add3_u32 v18, v18, v6, v7
	s_waitcnt lgkmcnt(0)
	v_add3_u32 v18, v18, v0, v1
	s_delay_alu instid0(VALU_DEP_1) | instskip(NEXT) | instid1(VALU_DEP_1)
	v_add3_u32 v3, v18, v2, v3
	v_mov_b32_dpp v18, v3 row_shr:1 row_mask:0xf bank_mask:0xf
	s_delay_alu instid0(VALU_DEP_1) | instskip(NEXT) | instid1(VALU_DEP_1)
	v_cndmask_b32_e64 v18, v18, 0, s1
	v_add_nc_u32_e32 v3, v18, v3
	s_delay_alu instid0(VALU_DEP_1) | instskip(NEXT) | instid1(VALU_DEP_1)
	v_mov_b32_dpp v18, v3 row_shr:2 row_mask:0xf bank_mask:0xf
	v_cndmask_b32_e64 v18, 0, v18, s3
	s_delay_alu instid0(VALU_DEP_1) | instskip(NEXT) | instid1(VALU_DEP_1)
	v_add_nc_u32_e32 v3, v3, v18
	v_mov_b32_dpp v18, v3 row_shr:4 row_mask:0xf bank_mask:0xf
	s_delay_alu instid0(VALU_DEP_1) | instskip(NEXT) | instid1(VALU_DEP_1)
	v_cndmask_b32_e64 v18, 0, v18, s4
	v_add_nc_u32_e32 v3, v3, v18
	s_delay_alu instid0(VALU_DEP_1) | instskip(NEXT) | instid1(VALU_DEP_1)
	v_mov_b32_dpp v18, v3 row_shr:8 row_mask:0xf bank_mask:0xf
	v_cndmask_b32_e64 v18, 0, v18, s5
	s_delay_alu instid0(VALU_DEP_1) | instskip(SKIP_3) | instid1(VALU_DEP_1)
	v_add_nc_u32_e32 v3, v3, v18
	ds_swizzle_b32 v18, v3 offset:swizzle(BROADCAST,32,15)
	s_waitcnt lgkmcnt(0)
	v_cndmask_b32_e64 v18, v18, 0, s8
	v_add_nc_u32_e32 v3, v3, v18
	s_and_saveexec_b32 s1, s7
	s_cbranch_execz .LBB0_62
; %bb.61:
	ds_store_b32 v14, v3 offset:8160
.LBB0_62:
	s_or_b32 exec_lo, exec_lo, s1
	s_waitcnt lgkmcnt(0)
	s_barrier
	buffer_gl0_inv
	s_and_saveexec_b32 s1, s9
	s_cbranch_execz .LBB0_64
; %bb.63:
	ds_load_b32 v18, v17 offset:8160
	s_waitcnt lgkmcnt(0)
	v_mov_b32_dpp v20, v18 row_shr:1 row_mask:0xf bank_mask:0xf
	s_delay_alu instid0(VALU_DEP_1) | instskip(NEXT) | instid1(VALU_DEP_1)
	v_cndmask_b32_e64 v20, v20, 0, s6
	v_add_nc_u32_e32 v18, v20, v18
	s_delay_alu instid0(VALU_DEP_1) | instskip(NEXT) | instid1(VALU_DEP_1)
	v_mov_b32_dpp v20, v18 row_shr:2 row_mask:0xf bank_mask:0xf
	v_cndmask_b32_e64 v20, 0, v20, s2
	s_delay_alu instid0(VALU_DEP_1) | instskip(NEXT) | instid1(VALU_DEP_1)
	v_add_nc_u32_e32 v18, v18, v20
	v_mov_b32_dpp v20, v18 row_shr:4 row_mask:0xf bank_mask:0xf
	s_delay_alu instid0(VALU_DEP_1) | instskip(NEXT) | instid1(VALU_DEP_1)
	v_cndmask_b32_e64 v20, 0, v20, s0
	v_add_nc_u32_e32 v18, v18, v20
	ds_store_b32 v17, v18 offset:8160
.LBB0_64:
	s_or_b32 exec_lo, exec_lo, s1
	v_dual_mov_b32 v17, 0 :: v_dual_mov_b32 v18, 0
	s_waitcnt lgkmcnt(0)
	s_barrier
	buffer_gl0_inv
	s_and_saveexec_b32 s0, s10
	s_cbranch_execz .LBB0_66
; %bb.65:
	ds_load_b32 v18, v14 offset:8156
.LBB0_66:
	s_or_b32 exec_lo, exec_lo, s0
	s_waitcnt lgkmcnt(0)
	v_add_nc_u32_e32 v3, v18, v3
	ds_load_b32 v14, v17 offset:8188
	ds_bpermute_b32 v3, v19, v3
	s_waitcnt lgkmcnt(0)
	v_cndmask_b32_e64 v3, v3, v18, s11
	s_delay_alu instid0(VALU_DEP_1) | instskip(NEXT) | instid1(VALU_DEP_1)
	v_lshl_add_u32 v3, v14, 16, v3
	v_add_nc_u32_e32 v4, v3, v4
	s_delay_alu instid0(VALU_DEP_1) | instskip(NEXT) | instid1(VALU_DEP_1)
	v_add_nc_u32_e32 v5, v4, v5
	v_add_nc_u32_e32 v6, v5, v6
	s_delay_alu instid0(VALU_DEP_1) | instskip(NEXT) | instid1(VALU_DEP_1)
	v_add_nc_u32_e32 v17, v6, v7
	v_add_nc_u32_e32 v18, v17, v0
	s_delay_alu instid0(VALU_DEP_1) | instskip(NEXT) | instid1(VALU_DEP_1)
	v_add_nc_u32_e32 v0, v18, v1
	v_add_nc_u32_e32 v1, v0, v2
	v_and_b32_e32 v2, 0xffffff00, v8
	ds_store_2addr_b64 v11, v[3:4], v[5:6] offset1:1
	ds_store_2addr_b64 v11, v[17:18], v[0:1] offset0:2 offset1:3
	s_waitcnt lgkmcnt(0)
	s_barrier
	buffer_gl0_inv
	ds_load_u16 v0, v15
	v_and_b32_e32 v1, 0xffff, v16
	v_or_b32_e32 v2, v2, v12
	s_waitcnt lgkmcnt(0)
	s_barrier
	buffer_gl0_inv
	v_lshlrev_b32_e32 v1, 1, v1
	s_delay_alu instid0(VALU_DEP_1)
	v_lshl_add_u32 v0, v0, 1, v1
	ds_store_b16 v0, v2
	s_waitcnt lgkmcnt(0)
	s_barrier
.LBB0_67:
	buffer_gl0_inv
	ds_load_u8 v0, v13 offset:1
	ds_load_u8 v1, v13
	s_waitcnt lgkmcnt(1)
	v_lshlrev_b16 v0, 8, v0
	s_waitcnt lgkmcnt(0)
	s_delay_alu instid0(VALU_DEP_1)
	v_or_b32_e32 v0, v1, v0
	global_store_b16 v[9:10], v0, off
	s_nop 0
	s_sendmsg sendmsg(MSG_DEALLOC_VGPRS)
	s_endpgm
	.section	.rodata,"a",@progbits
	.p2align	6, 0x0
	.amdhsa_kernel _Z15sort_key_kernelILj255ELj1ELb1ELb0EN10test_utils16custom_test_typeIhEEEvPT3_jj
		.amdhsa_group_segment_fixed_size 8192
		.amdhsa_private_segment_fixed_size 0
		.amdhsa_kernarg_size 16
		.amdhsa_user_sgpr_count 15
		.amdhsa_user_sgpr_dispatch_ptr 0
		.amdhsa_user_sgpr_queue_ptr 0
		.amdhsa_user_sgpr_kernarg_segment_ptr 1
		.amdhsa_user_sgpr_dispatch_id 0
		.amdhsa_user_sgpr_private_segment_size 0
		.amdhsa_wavefront_size32 1
		.amdhsa_uses_dynamic_stack 0
		.amdhsa_enable_private_segment 0
		.amdhsa_system_sgpr_workgroup_id_x 1
		.amdhsa_system_sgpr_workgroup_id_y 0
		.amdhsa_system_sgpr_workgroup_id_z 0
		.amdhsa_system_sgpr_workgroup_info 0
		.amdhsa_system_vgpr_workitem_id 0
		.amdhsa_next_free_vgpr 29
		.amdhsa_next_free_sgpr 26
		.amdhsa_reserve_vcc 1
		.amdhsa_float_round_mode_32 0
		.amdhsa_float_round_mode_16_64 0
		.amdhsa_float_denorm_mode_32 3
		.amdhsa_float_denorm_mode_16_64 3
		.amdhsa_dx10_clamp 1
		.amdhsa_ieee_mode 1
		.amdhsa_fp16_overflow 0
		.amdhsa_workgroup_processor_mode 1
		.amdhsa_memory_ordered 1
		.amdhsa_forward_progress 0
		.amdhsa_shared_vgpr_count 0
		.amdhsa_exception_fp_ieee_invalid_op 0
		.amdhsa_exception_fp_denorm_src 0
		.amdhsa_exception_fp_ieee_div_zero 0
		.amdhsa_exception_fp_ieee_overflow 0
		.amdhsa_exception_fp_ieee_underflow 0
		.amdhsa_exception_fp_ieee_inexact 0
		.amdhsa_exception_int_div_zero 0
	.end_amdhsa_kernel
	.section	.text._Z15sort_key_kernelILj255ELj1ELb1ELb0EN10test_utils16custom_test_typeIhEEEvPT3_jj,"axG",@progbits,_Z15sort_key_kernelILj255ELj1ELb1ELb0EN10test_utils16custom_test_typeIhEEEvPT3_jj,comdat
.Lfunc_end0:
	.size	_Z15sort_key_kernelILj255ELj1ELb1ELb0EN10test_utils16custom_test_typeIhEEEvPT3_jj, .Lfunc_end0-_Z15sort_key_kernelILj255ELj1ELb1ELb0EN10test_utils16custom_test_typeIhEEEvPT3_jj
                                        ; -- End function
	.section	.AMDGPU.csdata,"",@progbits
; Kernel info:
; codeLenInByte = 5072
; NumSgprs: 28
; NumVgprs: 29
; ScratchSize: 0
; MemoryBound: 0
; FloatMode: 240
; IeeeMode: 1
; LDSByteSize: 8192 bytes/workgroup (compile time only)
; SGPRBlocks: 3
; VGPRBlocks: 3
; NumSGPRsForWavesPerEU: 28
; NumVGPRsForWavesPerEU: 29
; Occupancy: 16
; WaveLimiterHint : 0
; COMPUTE_PGM_RSRC2:SCRATCH_EN: 0
; COMPUTE_PGM_RSRC2:USER_SGPR: 15
; COMPUTE_PGM_RSRC2:TRAP_HANDLER: 0
; COMPUTE_PGM_RSRC2:TGID_X_EN: 1
; COMPUTE_PGM_RSRC2:TGID_Y_EN: 0
; COMPUTE_PGM_RSRC2:TGID_Z_EN: 0
; COMPUTE_PGM_RSRC2:TIDIG_COMP_CNT: 0
	.section	.text._Z15sort_key_kernelILj129ELj2ELb0ELb1EN10test_utils16custom_test_typeIfEEEvPT3_jj,"axG",@progbits,_Z15sort_key_kernelILj129ELj2ELb0ELb1EN10test_utils16custom_test_typeIfEEEvPT3_jj,comdat
	.protected	_Z15sort_key_kernelILj129ELj2ELb0ELb1EN10test_utils16custom_test_typeIfEEEvPT3_jj ; -- Begin function _Z15sort_key_kernelILj129ELj2ELb0ELb1EN10test_utils16custom_test_typeIfEEEvPT3_jj
	.globl	_Z15sort_key_kernelILj129ELj2ELb0ELb1EN10test_utils16custom_test_typeIfEEEvPT3_jj
	.p2align	8
	.type	_Z15sort_key_kernelILj129ELj2ELb0ELb1EN10test_utils16custom_test_typeIfEEEvPT3_jj,@function
_Z15sort_key_kernelILj129ELj2ELb0ELb1EN10test_utils16custom_test_typeIfEEEvPT3_jj: ; @_Z15sort_key_kernelILj129ELj2ELb0ELb1EN10test_utils16custom_test_typeIfEEEvPT3_jj
; %bb.0:
	s_load_b128 s[20:23], s[0:1], 0x0
	v_mbcnt_lo_u32_b32 v6, -1, 0
	s_mov_b32 s1, 0
	s_mul_i32 s0, s15, 0x102
	v_and_b32_e32 v9, 0xe0, v0
	s_lshl_b64 s[0:1], s[0:1], 3
	v_add_nc_u32_e32 v10, -1, v6
	v_and_b32_e32 v7, 15, v6
	v_and_b32_e32 v8, 16, v6
	v_cmp_eq_u32_e64 s2, 0, v6
	v_and_b32_e32 v12, 7, v6
	v_cmp_gt_i32_e32 vcc_lo, 0, v10
	v_lshlrev_b32_e32 v5, 4, v0
	v_cmp_eq_u32_e64 s3, 0, v7
	v_cmp_lt_u32_e64 s4, 1, v7
	v_cmp_lt_u32_e64 s5, 3, v7
	v_cndmask_b32_e32 v6, v10, v6, vcc_lo
	v_cmp_lt_u32_e64 s6, 7, v7
	v_min_u32_e32 v7, 0x61, v9
	v_lshlrev_b32_e32 v19, 5, v0
	s_waitcnt lgkmcnt(0)
	s_add_u32 s18, s20, s0
	s_addc_u32 s19, s21, s1
	v_lshlrev_b32_e32 v23, 2, v6
	global_load_b128 v[1:4], v5, s[18:19]
	v_add_co_u32 v13, s18, s18, v5
	v_add_nc_u32_e32 v7, 31, v7
	s_cmp_eq_u32 s22, 0
	v_lshrrev_b32_e32 v11, 3, v0
	s_cselect_b32 s20, -1, 0
	s_cmp_eq_u32 s23, 64
	v_cmp_eq_u32_e64 s11, v7, v0
	v_cmp_eq_u32_e64 s7, 0, v8
	v_mad_i32_i24 v22, 0xffffffe4, v0, v19
	s_cselect_b32 s21, -1, 0
	v_add_co_ci_u32_e64 v14, null, s19, 0, s18
	s_and_b32 s18, s20, s21
	v_cmp_gt_u32_e64 s0, 5, v0
	v_cmp_lt_u32_e64 s1, 31, v0
	v_cmp_gt_u32_e64 s12, 0x387, v0
	v_cmp_gt_u32_e64 s13, 0x306, v0
	;; [unrolled: 1-line block ×6, first 2 shown]
	v_and_b32_e32 v21, 28, v11
	v_cmp_eq_u32_e64 s8, 0, v12
	v_cmp_lt_u32_e64 s9, 1, v12
	v_cmp_lt_u32_e64 s10, 3, v12
	v_mad_u32_u24 v20, v0, 12, v22
	s_mov_b32 s19, -1
	s_waitcnt vmcnt(0)
	v_cmp_gt_i32_e32 vcc_lo, 0, v1
	v_cndmask_b32_e64 v5, 0x7fffffff, 0, vcc_lo
	v_cmp_gt_i32_e32 vcc_lo, 0, v2
	s_delay_alu instid0(VALU_DEP_2) | instskip(SKIP_2) | instid1(VALU_DEP_2)
	v_xor_b32_e32 v1, v5, v1
	v_cndmask_b32_e64 v6, 0x7fffffff, 0, vcc_lo
	v_cmp_gt_i32_e32 vcc_lo, 0, v3
	v_xor_b32_e32 v2, v6, v2
	v_cndmask_b32_e64 v7, 0x7fffffff, 0, vcc_lo
	v_cmp_gt_i32_e32 vcc_lo, 0, v4
	s_delay_alu instid0(VALU_DEP_2) | instskip(SKIP_3) | instid1(VALU_DEP_2)
	v_xor_b32_e32 v3, v7, v3
	v_cndmask_b32_e64 v8, 0x7fffffff, 0, vcc_lo
	s_and_b32 vcc_lo, exec_lo, s18
	v_cmp_gt_u32_e64 s18, 0x81, v0
	v_xor_b32_e32 v4, v8, v4
	s_cbranch_vccnz .LBB1_20
; %bb.1:
	v_dual_mov_b32 v25, 0 :: v_dual_lshlrev_b32 v24, 2, v0
	s_delay_alu instid0(VALU_DEP_2)
	v_dual_mov_b32 v8, v4 :: v_dual_mov_b32 v7, v3
	v_dual_mov_b32 v6, v2 :: v_dual_mov_b32 v5, v1
	s_sub_i32 s20, 0, s22
	s_sub_i32 s21, s23, s22
	s_branch .LBB1_3
.LBB1_2:                                ;   in Loop: Header=BB1_3 Depth=1
	s_barrier
	buffer_gl0_inv
	ds_store_b64 v10, v[17:18]
	ds_store_b64 v9, v[15:16]
	s_waitcnt lgkmcnt(0)
	s_barrier
	buffer_gl0_inv
	ds_load_2addr_b64 v[5:8], v20 offset1:1
	s_add_i32 s20, s20, -4
	s_add_i32 s21, s21, -4
	s_waitcnt lgkmcnt(0)
	s_barrier
	buffer_gl0_inv
	s_cbranch_execz .LBB1_19
.LBB1_3:                                ; =>This Inner Loop Header: Depth=1
	s_delay_alu instid0(VALU_DEP_1)
	v_dual_mov_b32 v17, v5 :: v_dual_mov_b32 v18, v6
	v_dual_mov_b32 v15, v7 :: v_dual_mov_b32 v16, v8
	ds_store_b32 v24, v25
	s_and_saveexec_b32 s19, s12
	s_cbranch_execz .LBB1_11
; %bb.4:                                ;   in Loop: Header=BB1_3 Depth=1
	ds_store_b32 v24, v25 offset:516
	s_and_b32 exec_lo, exec_lo, s13
	s_cbranch_execz .LBB1_11
; %bb.5:                                ;   in Loop: Header=BB1_3 Depth=1
	ds_store_b32 v24, v25 offset:1032
	s_and_b32 exec_lo, exec_lo, s14
	;; [unrolled: 4-line block ×6, first 2 shown]
	s_cbranch_execz .LBB1_11
; %bb.10:                               ;   in Loop: Header=BB1_3 Depth=1
	ds_store_b32 v24, v25 offset:3612
.LBB1_11:                               ;   in Loop: Header=BB1_3 Depth=1
	s_or_b32 exec_lo, exec_lo, s19
	s_max_i32 s24, s22, 0
	s_max_i32 s25, s20, 0
	s_add_i32 s19, s24, s20
	s_add_i32 s26, s23, s20
	s_min_u32 s27, s21, 4
	s_sub_i32 s19, s19, s25
	s_min_u32 s26, s26, 4
	s_add_i32 s27, s27, s22
	s_cmp_lt_i32 s22, 32
	v_lshrrev_b32_e32 v5, s24, v18
	s_cselect_b32 s28, -1, 0
	s_cmp_gt_i32 s27, 0
	s_cselect_b32 s29, -1, 0
	s_delay_alu instid0(SALU_CYCLE_1)
	s_and_b32 vcc_lo, s28, s29
	s_cmp_lt_i32 s22, 64
	s_cselect_b32 s28, -1, 0
	s_cmp_gt_i32 s27, 32
	s_cselect_b32 s29, -1, 0
	s_add_i32 s19, s19, s27
	s_delay_alu instid0(SALU_CYCLE_1) | instskip(NEXT) | instid1(SALU_CYCLE_1)
	s_min_i32 s19, s19, 32
	s_sub_i32 s27, s19, s24
	s_and_b32 s19, s28, s29
	s_lshl_b32 s30, -1, s27
	s_delay_alu instid0(SALU_CYCLE_1)
	s_not_b32 s28, s30
	s_cmp_lg_u32 s27, 32
	s_cselect_b32 s27, s28, -1
	s_max_i32 s28, s22, 32
	s_add_i32 s29, s20, 32
	s_sub_i32 s28, s28, 32
	s_max_i32 s29, s29, 0
	s_add_i32 s26, s28, s26
	v_lshrrev_b32_e32 v6, s28, v17
	s_sub_i32 s26, s26, s29
	v_and_b32_e32 v5, s27, v5
	s_min_i32 s26, s26, 32
	v_lshrrev_b32_e32 v8, s28, v15
	s_sub_i32 s26, s26, s28
	s_delay_alu instid0(SALU_CYCLE_1)
	s_lshl_b32 s30, -1, s26
	v_lshlrev_b32_e32 v5, s25, v5
	s_not_b32 s30, s30
	s_cmp_lg_u32 s26, 32
	s_cselect_b32 s26, s30, -1
	s_delay_alu instid0(VALU_DEP_1) | instid1(SALU_CYCLE_1)
	v_dual_cndmask_b32 v5, 0, v5 :: v_dual_and_b32 v6, s26, v6
	v_and_b32_e32 v8, s26, v8
	s_delay_alu instid0(VALU_DEP_2) | instskip(NEXT) | instid1(VALU_DEP_2)
	v_lshlrev_b32_e32 v6, s29, v6
	v_lshlrev_b32_e32 v8, s29, v8
	s_delay_alu instid0(VALU_DEP_2) | instskip(NEXT) | instid1(VALU_DEP_1)
	v_cndmask_b32_e64 v6, 0, v6, s19
	v_or_b32_e32 v5, v5, v6
	v_lshrrev_b32_e32 v6, s24, v16
	s_delay_alu instid0(VALU_DEP_2) | instskip(NEXT) | instid1(VALU_DEP_2)
	v_and_b32_e32 v7, 7, v5
	v_and_b32_e32 v6, s27, v6
	v_lshrrev_b32_e32 v5, 3, v5
	s_delay_alu instid0(VALU_DEP_3) | instskip(NEXT) | instid1(VALU_DEP_3)
	v_mul_u32_u24_e32 v7, 0x81, v7
	v_lshlrev_b32_e32 v6, s25, v6
	s_delay_alu instid0(VALU_DEP_2) | instskip(NEXT) | instid1(VALU_DEP_2)
	v_add_lshl_u32 v7, v7, v0, 1
	v_cndmask_b32_e32 v6, 0, v6, vcc_lo
	s_delay_alu instid0(VALU_DEP_2) | instskip(SKIP_3) | instid1(VALU_DEP_1)
	v_add_lshl_u32 v26, v7, v5, 1
	v_cndmask_b32_e64 v5, 0, v8, s19
	ds_load_u16 v27, v26
	v_or_b32_e32 v5, v6, v5
	v_and_b32_e32 v6, 7, v5
	v_lshrrev_b32_e32 v5, 3, v5
	s_delay_alu instid0(VALU_DEP_2) | instskip(NEXT) | instid1(VALU_DEP_1)
	v_mul_u32_u24_e32 v6, 0x81, v6
	v_add_lshl_u32 v6, v6, v0, 1
	s_waitcnt lgkmcnt(0)
	v_add_nc_u16 v7, v27, 1
	s_delay_alu instid0(VALU_DEP_2)
	v_add_lshl_u32 v28, v6, v5, 1
	ds_store_b16 v26, v7
	ds_load_u16 v29, v28
	s_waitcnt lgkmcnt(0)
	v_add_nc_u16 v5, v29, 1
	ds_store_b16 v28, v5
	s_waitcnt lgkmcnt(0)
	s_barrier
	buffer_gl0_inv
	ds_load_2addr_b64 v[9:12], v19 offset1:1
	ds_load_2addr_b64 v[5:8], v19 offset0:2 offset1:3
	s_waitcnt lgkmcnt(1)
	v_add_nc_u32_e32 v30, v10, v9
	s_delay_alu instid0(VALU_DEP_1) | instskip(SKIP_1) | instid1(VALU_DEP_1)
	v_add3_u32 v30, v30, v11, v12
	s_waitcnt lgkmcnt(0)
	v_add3_u32 v30, v30, v5, v6
	s_delay_alu instid0(VALU_DEP_1) | instskip(NEXT) | instid1(VALU_DEP_1)
	v_add3_u32 v8, v30, v7, v8
	v_mov_b32_dpp v30, v8 row_shr:1 row_mask:0xf bank_mask:0xf
	s_delay_alu instid0(VALU_DEP_1) | instskip(NEXT) | instid1(VALU_DEP_1)
	v_cndmask_b32_e64 v30, v30, 0, s3
	v_add_nc_u32_e32 v8, v30, v8
	s_delay_alu instid0(VALU_DEP_1) | instskip(NEXT) | instid1(VALU_DEP_1)
	v_mov_b32_dpp v30, v8 row_shr:2 row_mask:0xf bank_mask:0xf
	v_cndmask_b32_e64 v30, 0, v30, s4
	s_delay_alu instid0(VALU_DEP_1) | instskip(NEXT) | instid1(VALU_DEP_1)
	v_add_nc_u32_e32 v8, v8, v30
	v_mov_b32_dpp v30, v8 row_shr:4 row_mask:0xf bank_mask:0xf
	s_delay_alu instid0(VALU_DEP_1) | instskip(NEXT) | instid1(VALU_DEP_1)
	v_cndmask_b32_e64 v30, 0, v30, s5
	v_add_nc_u32_e32 v8, v8, v30
	s_delay_alu instid0(VALU_DEP_1) | instskip(NEXT) | instid1(VALU_DEP_1)
	v_mov_b32_dpp v30, v8 row_shr:8 row_mask:0xf bank_mask:0xf
	v_cndmask_b32_e64 v30, 0, v30, s6
	s_delay_alu instid0(VALU_DEP_1) | instskip(SKIP_3) | instid1(VALU_DEP_1)
	v_add_nc_u32_e32 v8, v8, v30
	ds_swizzle_b32 v30, v8 offset:swizzle(BROADCAST,32,15)
	s_waitcnt lgkmcnt(0)
	v_cndmask_b32_e64 v30, v30, 0, s7
	v_add_nc_u32_e32 v8, v8, v30
	s_and_saveexec_b32 s19, s11
	s_cbranch_execz .LBB1_13
; %bb.12:                               ;   in Loop: Header=BB1_3 Depth=1
	ds_store_b32 v21, v8 offset:4128
.LBB1_13:                               ;   in Loop: Header=BB1_3 Depth=1
	s_or_b32 exec_lo, exec_lo, s19
	s_waitcnt lgkmcnt(0)
	s_barrier
	buffer_gl0_inv
	s_and_saveexec_b32 s19, s0
	s_cbranch_execz .LBB1_15
; %bb.14:                               ;   in Loop: Header=BB1_3 Depth=1
	ds_load_b32 v30, v22 offset:4128
	s_waitcnt lgkmcnt(0)
	v_mov_b32_dpp v31, v30 row_shr:1 row_mask:0xf bank_mask:0xf
	s_delay_alu instid0(VALU_DEP_1) | instskip(NEXT) | instid1(VALU_DEP_1)
	v_cndmask_b32_e64 v31, v31, 0, s8
	v_add_nc_u32_e32 v30, v31, v30
	s_delay_alu instid0(VALU_DEP_1) | instskip(NEXT) | instid1(VALU_DEP_1)
	v_mov_b32_dpp v31, v30 row_shr:2 row_mask:0xf bank_mask:0xf
	v_cndmask_b32_e64 v31, 0, v31, s9
	s_delay_alu instid0(VALU_DEP_1) | instskip(NEXT) | instid1(VALU_DEP_1)
	v_add_nc_u32_e32 v30, v30, v31
	v_mov_b32_dpp v31, v30 row_shr:4 row_mask:0xf bank_mask:0xf
	s_delay_alu instid0(VALU_DEP_1) | instskip(NEXT) | instid1(VALU_DEP_1)
	v_cndmask_b32_e64 v31, 0, v31, s10
	v_add_nc_u32_e32 v30, v30, v31
	ds_store_b32 v22, v30 offset:4128
.LBB1_15:                               ;   in Loop: Header=BB1_3 Depth=1
	s_or_b32 exec_lo, exec_lo, s19
	v_mov_b32_e32 v30, 0
	s_waitcnt lgkmcnt(0)
	s_barrier
	buffer_gl0_inv
	s_and_saveexec_b32 s19, s1
	s_cbranch_execz .LBB1_17
; %bb.16:                               ;   in Loop: Header=BB1_3 Depth=1
	ds_load_b32 v30, v21 offset:4124
.LBB1_17:                               ;   in Loop: Header=BB1_3 Depth=1
	s_or_b32 exec_lo, exec_lo, s19
	s_waitcnt lgkmcnt(0)
	v_add_nc_u32_e32 v8, v30, v8
	ds_load_b32 v31, v25 offset:4144
	s_add_i32 s22, s22, 4
	s_delay_alu instid0(SALU_CYCLE_1) | instskip(SKIP_3) | instid1(VALU_DEP_1)
	s_cmp_ge_u32 s22, s23
	ds_bpermute_b32 v8, v23, v8
	s_waitcnt lgkmcnt(0)
	v_cndmask_b32_e64 v8, v8, v30, s2
	v_lshl_add_u32 v8, v31, 16, v8
	s_delay_alu instid0(VALU_DEP_1) | instskip(NEXT) | instid1(VALU_DEP_1)
	v_add_nc_u32_e32 v9, v8, v9
	v_add_nc_u32_e32 v10, v9, v10
	s_delay_alu instid0(VALU_DEP_1) | instskip(NEXT) | instid1(VALU_DEP_1)
	v_add_nc_u32_e32 v11, v10, v11
	v_add_nc_u32_e32 v30, v11, v12
	;; [unrolled: 3-line block ×3, first 2 shown]
	s_delay_alu instid0(VALU_DEP_1)
	v_add_nc_u32_e32 v6, v5, v7
	v_and_b32_e32 v7, 0xffff, v27
	ds_store_2addr_b64 v19, v[8:9], v[10:11] offset1:1
	ds_store_2addr_b64 v19, v[30:31], v[5:6] offset0:2 offset1:3
	s_waitcnt lgkmcnt(0)
	s_barrier
	buffer_gl0_inv
	ds_load_u16 v5, v26
	ds_load_u16 v6, v28
	v_and_b32_e32 v8, 0xffff, v29
	v_lshlrev_b32_e32 v7, 3, v7
	s_waitcnt lgkmcnt(0)
	s_delay_alu instid0(VALU_DEP_2) | instskip(NEXT) | instid1(VALU_DEP_2)
	v_lshlrev_b32_e32 v8, 3, v8
	v_lshl_add_u32 v10, v5, 3, v7
	s_delay_alu instid0(VALU_DEP_2)
	v_lshl_add_u32 v9, v6, 3, v8
	s_cbranch_scc0 .LBB1_2
; %bb.18:
                                        ; implicit-def: $vgpr5
                                        ; implicit-def: $sgpr20
                                        ; implicit-def: $sgpr21
.LBB1_19:
	s_mov_b32 s19, 0
	s_barrier
	buffer_gl0_inv
	ds_store_b64 v10, v[17:18]
	ds_store_b64 v9, v[15:16]
	s_waitcnt lgkmcnt(0)
	s_barrier
.LBB1_20:
	s_and_b32 vcc_lo, exec_lo, s19
	s_cbranch_vccz .LBB1_40
; %bb.21:
	v_mul_i32_i24_e32 v5, -12, v0
	v_cmp_gt_u32_e64 s12, 0x387, v0
	v_cmp_gt_u32_e64 s13, 0x306, v0
	;; [unrolled: 1-line block ×7, first 2 shown]
	v_dual_mov_b32 v16, 0 :: v_dual_add_nc_u32 v15, v20, v5
	s_mov_b32 s20, 0
	s_mov_b32 s21, 32
	;; [unrolled: 1-line block ×3, first 2 shown]
	s_branch .LBB1_23
.LBB1_22:                               ;   in Loop: Header=BB1_23 Depth=1
	s_barrier
	buffer_gl0_inv
	ds_store_b64 v6, v[11:12]
	ds_store_b64 v5, v[9:10]
	s_waitcnt lgkmcnt(0)
	s_barrier
	buffer_gl0_inv
	ds_load_2addr_b64 v[1:4], v20 offset1:1
	s_add_i32 s21, s21, -4
	s_add_i32 s22, s22, 4
	s_add_i32 s20, s20, 4
	s_waitcnt lgkmcnt(0)
	s_barrier
	buffer_gl0_inv
	s_cbranch_execz .LBB1_39
.LBB1_23:                               ; =>This Inner Loop Header: Depth=1
	v_dual_mov_b32 v11, v1 :: v_dual_mov_b32 v12, v2
	v_dual_mov_b32 v9, v3 :: v_dual_mov_b32 v10, v4
	ds_store_b32 v15, v16
	s_and_saveexec_b32 s19, s12
	s_cbranch_execz .LBB1_31
; %bb.24:                               ;   in Loop: Header=BB1_23 Depth=1
	ds_store_b32 v15, v16 offset:516
	s_and_b32 exec_lo, exec_lo, s13
	s_cbranch_execz .LBB1_31
; %bb.25:                               ;   in Loop: Header=BB1_23 Depth=1
	ds_store_b32 v15, v16 offset:1032
	s_and_b32 exec_lo, exec_lo, s14
	s_cbranch_execz .LBB1_31
; %bb.26:                               ;   in Loop: Header=BB1_23 Depth=1
	ds_store_b32 v15, v16 offset:1548
	s_and_b32 exec_lo, exec_lo, s15
	s_cbranch_execz .LBB1_31
; %bb.27:                               ;   in Loop: Header=BB1_23 Depth=1
	ds_store_b32 v15, v16 offset:2064
	s_and_b32 exec_lo, exec_lo, s16
	s_cbranch_execz .LBB1_31
; %bb.28:                               ;   in Loop: Header=BB1_23 Depth=1
	ds_store_b32 v15, v16 offset:2580
	s_and_b32 exec_lo, exec_lo, s17
	s_cbranch_execz .LBB1_31
; %bb.29:                               ;   in Loop: Header=BB1_23 Depth=1
	ds_store_b32 v15, v16 offset:3096
	s_and_b32 exec_lo, exec_lo, s18
	s_cbranch_execz .LBB1_31
; %bb.30:                               ;   in Loop: Header=BB1_23 Depth=1
	ds_store_b32 v15, v16 offset:3612
.LBB1_31:                               ;   in Loop: Header=BB1_23 Depth=1
	s_or_b32 exec_lo, exec_lo, s19
	s_min_i32 s23, s22, 32
	s_cmp_lt_u32 s20, 32
	v_lshrrev_b32_e32 v2, s20, v12
	s_cselect_b32 vcc_lo, -1, 0
	s_cmp_gt_u32 s20, 28
	v_lshrrev_b32_e32 v4, s20, v10
	s_cselect_b32 s19, -1, 0
	s_sub_i32 s23, s23, 32
	s_delay_alu instid0(SALU_CYCLE_1) | instskip(NEXT) | instid1(SALU_CYCLE_1)
	s_add_i32 s24, s23, s21
	s_lshl_b32 s24, -1, s24
	s_delay_alu instid0(SALU_CYCLE_1)
	s_not_b32 s24, s24
	s_cmp_lg_u32 s23, s20
	s_cselect_b32 s23, s24, -1
	s_max_i32 s24, s21, 0
	s_max_i32 s25, s20, 32
	v_and_b32_e32 v2, s23, v2
	s_sub_i32 s26, s25, s24
	s_sub_i32 s25, s25, 32
	;; [unrolled: 1-line block ×3, first 2 shown]
	v_lshrrev_b32_e32 v1, s25, v11
	s_min_i32 s26, s26, 32
	v_and_b32_e32 v4, s23, v4
	s_sub_i32 s26, s26, s25
	v_lshrrev_b32_e32 v3, s25, v9
	s_lshl_b32 s27, -1, s26
	v_cndmask_b32_e32 v2, 0, v2, vcc_lo
	s_not_b32 s27, s27
	s_cmp_lg_u32 s26, 32
	v_cndmask_b32_e32 v4, 0, v4, vcc_lo
	s_cselect_b32 s26, s27, -1
	s_delay_alu instid0(SALU_CYCLE_1) | instskip(SKIP_1) | instid1(VALU_DEP_2)
	v_and_b32_e32 v1, s26, v1
	v_and_b32_e32 v3, s26, v3
	v_lshlrev_b32_e32 v1, s24, v1
	s_delay_alu instid0(VALU_DEP_2) | instskip(NEXT) | instid1(VALU_DEP_2)
	v_lshlrev_b32_e32 v3, s24, v3
	v_cndmask_b32_e64 v1, 0, v1, s19
	s_delay_alu instid0(VALU_DEP_1) | instskip(NEXT) | instid1(VALU_DEP_1)
	v_or_b32_e32 v1, v2, v1
	v_and_b32_e32 v2, 7, v1
	v_lshrrev_b32_e32 v1, 3, v1
	s_delay_alu instid0(VALU_DEP_2) | instskip(NEXT) | instid1(VALU_DEP_1)
	v_mul_u32_u24_e32 v2, 0x81, v2
	v_add_lshl_u32 v2, v2, v0, 1
	s_delay_alu instid0(VALU_DEP_1) | instskip(SKIP_3) | instid1(VALU_DEP_1)
	v_add_lshl_u32 v17, v2, v1, 1
	v_cndmask_b32_e64 v1, 0, v3, s19
	ds_load_u16 v18, v17
	v_or_b32_e32 v1, v4, v1
	v_and_b32_e32 v2, 7, v1
	v_lshrrev_b32_e32 v1, 3, v1
	s_delay_alu instid0(VALU_DEP_2) | instskip(NEXT) | instid1(VALU_DEP_1)
	v_mul_u32_u24_e32 v2, 0x81, v2
	v_add_lshl_u32 v2, v2, v0, 1
	s_waitcnt lgkmcnt(0)
	v_add_nc_u16 v3, v18, 1
	s_delay_alu instid0(VALU_DEP_2)
	v_add_lshl_u32 v24, v2, v1, 1
	ds_store_b16 v17, v3
	ds_load_u16 v25, v24
	s_waitcnt lgkmcnt(0)
	v_add_nc_u16 v1, v25, 1
	ds_store_b16 v24, v1
	s_waitcnt lgkmcnt(0)
	s_barrier
	buffer_gl0_inv
	ds_load_2addr_b64 v[5:8], v19 offset1:1
	ds_load_2addr_b64 v[1:4], v19 offset0:2 offset1:3
	s_waitcnt lgkmcnt(1)
	v_add_nc_u32_e32 v26, v6, v5
	s_delay_alu instid0(VALU_DEP_1) | instskip(SKIP_1) | instid1(VALU_DEP_1)
	v_add3_u32 v26, v26, v7, v8
	s_waitcnt lgkmcnt(0)
	v_add3_u32 v26, v26, v1, v2
	s_delay_alu instid0(VALU_DEP_1) | instskip(NEXT) | instid1(VALU_DEP_1)
	v_add3_u32 v4, v26, v3, v4
	v_mov_b32_dpp v26, v4 row_shr:1 row_mask:0xf bank_mask:0xf
	s_delay_alu instid0(VALU_DEP_1) | instskip(NEXT) | instid1(VALU_DEP_1)
	v_cndmask_b32_e64 v26, v26, 0, s3
	v_add_nc_u32_e32 v4, v26, v4
	s_delay_alu instid0(VALU_DEP_1) | instskip(NEXT) | instid1(VALU_DEP_1)
	v_mov_b32_dpp v26, v4 row_shr:2 row_mask:0xf bank_mask:0xf
	v_cndmask_b32_e64 v26, 0, v26, s4
	s_delay_alu instid0(VALU_DEP_1) | instskip(NEXT) | instid1(VALU_DEP_1)
	v_add_nc_u32_e32 v4, v4, v26
	v_mov_b32_dpp v26, v4 row_shr:4 row_mask:0xf bank_mask:0xf
	s_delay_alu instid0(VALU_DEP_1) | instskip(NEXT) | instid1(VALU_DEP_1)
	v_cndmask_b32_e64 v26, 0, v26, s5
	v_add_nc_u32_e32 v4, v4, v26
	s_delay_alu instid0(VALU_DEP_1) | instskip(NEXT) | instid1(VALU_DEP_1)
	v_mov_b32_dpp v26, v4 row_shr:8 row_mask:0xf bank_mask:0xf
	v_cndmask_b32_e64 v26, 0, v26, s6
	s_delay_alu instid0(VALU_DEP_1) | instskip(SKIP_3) | instid1(VALU_DEP_1)
	v_add_nc_u32_e32 v4, v4, v26
	ds_swizzle_b32 v26, v4 offset:swizzle(BROADCAST,32,15)
	s_waitcnt lgkmcnt(0)
	v_cndmask_b32_e64 v26, v26, 0, s7
	v_add_nc_u32_e32 v4, v4, v26
	s_and_saveexec_b32 s19, s11
	s_cbranch_execz .LBB1_33
; %bb.32:                               ;   in Loop: Header=BB1_23 Depth=1
	ds_store_b32 v21, v4 offset:4128
.LBB1_33:                               ;   in Loop: Header=BB1_23 Depth=1
	s_or_b32 exec_lo, exec_lo, s19
	s_waitcnt lgkmcnt(0)
	s_barrier
	buffer_gl0_inv
	s_and_saveexec_b32 s19, s0
	s_cbranch_execz .LBB1_35
; %bb.34:                               ;   in Loop: Header=BB1_23 Depth=1
	ds_load_b32 v26, v22 offset:4128
	s_waitcnt lgkmcnt(0)
	v_mov_b32_dpp v27, v26 row_shr:1 row_mask:0xf bank_mask:0xf
	s_delay_alu instid0(VALU_DEP_1) | instskip(NEXT) | instid1(VALU_DEP_1)
	v_cndmask_b32_e64 v27, v27, 0, s8
	v_add_nc_u32_e32 v26, v27, v26
	s_delay_alu instid0(VALU_DEP_1) | instskip(NEXT) | instid1(VALU_DEP_1)
	v_mov_b32_dpp v27, v26 row_shr:2 row_mask:0xf bank_mask:0xf
	v_cndmask_b32_e64 v27, 0, v27, s9
	s_delay_alu instid0(VALU_DEP_1) | instskip(NEXT) | instid1(VALU_DEP_1)
	v_add_nc_u32_e32 v26, v26, v27
	v_mov_b32_dpp v27, v26 row_shr:4 row_mask:0xf bank_mask:0xf
	s_delay_alu instid0(VALU_DEP_1) | instskip(NEXT) | instid1(VALU_DEP_1)
	v_cndmask_b32_e64 v27, 0, v27, s10
	v_add_nc_u32_e32 v26, v26, v27
	ds_store_b32 v22, v26 offset:4128
.LBB1_35:                               ;   in Loop: Header=BB1_23 Depth=1
	s_or_b32 exec_lo, exec_lo, s19
	v_mov_b32_e32 v26, 0
	s_waitcnt lgkmcnt(0)
	s_barrier
	buffer_gl0_inv
	s_and_saveexec_b32 s19, s1
	s_cbranch_execz .LBB1_37
; %bb.36:                               ;   in Loop: Header=BB1_23 Depth=1
	ds_load_b32 v26, v21 offset:4124
.LBB1_37:                               ;   in Loop: Header=BB1_23 Depth=1
	s_or_b32 exec_lo, exec_lo, s19
	s_waitcnt lgkmcnt(0)
	v_add_nc_u32_e32 v4, v26, v4
	ds_load_b32 v27, v16 offset:4144
	s_cmp_gt_u32 s20, 59
	ds_bpermute_b32 v4, v23, v4
	s_waitcnt lgkmcnt(0)
	v_cndmask_b32_e64 v4, v4, v26, s2
	s_delay_alu instid0(VALU_DEP_1) | instskip(NEXT) | instid1(VALU_DEP_1)
	v_lshl_add_u32 v4, v27, 16, v4
	v_add_nc_u32_e32 v5, v4, v5
	s_delay_alu instid0(VALU_DEP_1) | instskip(NEXT) | instid1(VALU_DEP_1)
	v_add_nc_u32_e32 v6, v5, v6
	v_add_nc_u32_e32 v7, v6, v7
	s_delay_alu instid0(VALU_DEP_1) | instskip(NEXT) | instid1(VALU_DEP_1)
	v_add_nc_u32_e32 v26, v7, v8
	v_add_nc_u32_e32 v27, v26, v1
	s_delay_alu instid0(VALU_DEP_1) | instskip(NEXT) | instid1(VALU_DEP_1)
	v_add_nc_u32_e32 v1, v27, v2
	v_add_nc_u32_e32 v2, v1, v3
	v_and_b32_e32 v3, 0xffff, v18
	ds_store_2addr_b64 v19, v[4:5], v[6:7] offset1:1
	ds_store_2addr_b64 v19, v[26:27], v[1:2] offset0:2 offset1:3
	s_waitcnt lgkmcnt(0)
	s_barrier
	buffer_gl0_inv
	ds_load_u16 v1, v17
	ds_load_u16 v2, v24
	v_and_b32_e32 v4, 0xffff, v25
	v_lshlrev_b32_e32 v3, 3, v3
	s_waitcnt lgkmcnt(0)
	s_delay_alu instid0(VALU_DEP_2) | instskip(NEXT) | instid1(VALU_DEP_2)
	v_lshlrev_b32_e32 v4, 3, v4
	v_lshl_add_u32 v6, v1, 3, v3
	s_delay_alu instid0(VALU_DEP_2)
	v_lshl_add_u32 v5, v2, 3, v4
	s_cbranch_scc0 .LBB1_22
; %bb.38:
                                        ; implicit-def: $sgpr20
                                        ; implicit-def: $vgpr1
                                        ; implicit-def: $sgpr21
                                        ; implicit-def: $sgpr22
.LBB1_39:
	s_barrier
	buffer_gl0_inv
	ds_store_b64 v6, v[11:12]
	ds_store_b64 v5, v[9:10]
	s_waitcnt lgkmcnt(0)
	s_barrier
.LBB1_40:
	buffer_gl0_inv
	ds_load_2addr_b64 v[0:3], v20 offset1:1
	s_waitcnt lgkmcnt(0)
	v_cmp_gt_i32_e32 vcc_lo, 0, v0
	v_cndmask_b32_e64 v4, 0x7fffffff, 0, vcc_lo
	v_cmp_gt_i32_e32 vcc_lo, 0, v1
	s_delay_alu instid0(VALU_DEP_2) | instskip(SKIP_2) | instid1(VALU_DEP_2)
	v_xor_b32_e32 v0, v4, v0
	v_cndmask_b32_e64 v5, 0x7fffffff, 0, vcc_lo
	v_cmp_gt_i32_e32 vcc_lo, 0, v2
	v_xor_b32_e32 v1, v5, v1
	v_cndmask_b32_e64 v6, 0x7fffffff, 0, vcc_lo
	v_cmp_gt_i32_e32 vcc_lo, 0, v3
	s_delay_alu instid0(VALU_DEP_2) | instskip(SKIP_1) | instid1(VALU_DEP_1)
	v_xor_b32_e32 v2, v6, v2
	v_cndmask_b32_e64 v7, 0x7fffffff, 0, vcc_lo
	v_xor_b32_e32 v3, v7, v3
	global_store_b128 v[13:14], v[0:3], off
	s_nop 0
	s_sendmsg sendmsg(MSG_DEALLOC_VGPRS)
	s_endpgm
	.section	.rodata,"a",@progbits
	.p2align	6, 0x0
	.amdhsa_kernel _Z15sort_key_kernelILj129ELj2ELb0ELb1EN10test_utils16custom_test_typeIfEEEvPT3_jj
		.amdhsa_group_segment_fixed_size 4160
		.amdhsa_private_segment_fixed_size 0
		.amdhsa_kernarg_size 16
		.amdhsa_user_sgpr_count 15
		.amdhsa_user_sgpr_dispatch_ptr 0
		.amdhsa_user_sgpr_queue_ptr 0
		.amdhsa_user_sgpr_kernarg_segment_ptr 1
		.amdhsa_user_sgpr_dispatch_id 0
		.amdhsa_user_sgpr_private_segment_size 0
		.amdhsa_wavefront_size32 1
		.amdhsa_uses_dynamic_stack 0
		.amdhsa_enable_private_segment 0
		.amdhsa_system_sgpr_workgroup_id_x 1
		.amdhsa_system_sgpr_workgroup_id_y 0
		.amdhsa_system_sgpr_workgroup_id_z 0
		.amdhsa_system_sgpr_workgroup_info 0
		.amdhsa_system_vgpr_workitem_id 0
		.amdhsa_next_free_vgpr 32
		.amdhsa_next_free_sgpr 31
		.amdhsa_reserve_vcc 1
		.amdhsa_float_round_mode_32 0
		.amdhsa_float_round_mode_16_64 0
		.amdhsa_float_denorm_mode_32 3
		.amdhsa_float_denorm_mode_16_64 3
		.amdhsa_dx10_clamp 1
		.amdhsa_ieee_mode 1
		.amdhsa_fp16_overflow 0
		.amdhsa_workgroup_processor_mode 1
		.amdhsa_memory_ordered 1
		.amdhsa_forward_progress 0
		.amdhsa_shared_vgpr_count 0
		.amdhsa_exception_fp_ieee_invalid_op 0
		.amdhsa_exception_fp_denorm_src 0
		.amdhsa_exception_fp_ieee_div_zero 0
		.amdhsa_exception_fp_ieee_overflow 0
		.amdhsa_exception_fp_ieee_underflow 0
		.amdhsa_exception_fp_ieee_inexact 0
		.amdhsa_exception_int_div_zero 0
	.end_amdhsa_kernel
	.section	.text._Z15sort_key_kernelILj129ELj2ELb0ELb1EN10test_utils16custom_test_typeIfEEEvPT3_jj,"axG",@progbits,_Z15sort_key_kernelILj129ELj2ELb0ELb1EN10test_utils16custom_test_typeIfEEEvPT3_jj,comdat
.Lfunc_end1:
	.size	_Z15sort_key_kernelILj129ELj2ELb0ELb1EN10test_utils16custom_test_typeIfEEEvPT3_jj, .Lfunc_end1-_Z15sort_key_kernelILj129ELj2ELb0ELb1EN10test_utils16custom_test_typeIfEEEvPT3_jj
                                        ; -- End function
	.section	.AMDGPU.csdata,"",@progbits
; Kernel info:
; codeLenInByte = 3160
; NumSgprs: 33
; NumVgprs: 32
; ScratchSize: 0
; MemoryBound: 0
; FloatMode: 240
; IeeeMode: 1
; LDSByteSize: 4160 bytes/workgroup (compile time only)
; SGPRBlocks: 4
; VGPRBlocks: 3
; NumSGPRsForWavesPerEU: 33
; NumVGPRsForWavesPerEU: 32
; Occupancy: 15
; WaveLimiterHint : 0
; COMPUTE_PGM_RSRC2:SCRATCH_EN: 0
; COMPUTE_PGM_RSRC2:USER_SGPR: 15
; COMPUTE_PGM_RSRC2:TRAP_HANDLER: 0
; COMPUTE_PGM_RSRC2:TGID_X_EN: 1
; COMPUTE_PGM_RSRC2:TGID_Y_EN: 0
; COMPUTE_PGM_RSRC2:TGID_Z_EN: 0
; COMPUTE_PGM_RSRC2:TIDIG_COMP_CNT: 0
	.section	.text._Z15sort_key_kernelILj128ELj4ELb0ELb0EN10test_utils16custom_test_typeIsEEEvPT3_jj,"axG",@progbits,_Z15sort_key_kernelILj128ELj4ELb0ELb0EN10test_utils16custom_test_typeIsEEEvPT3_jj,comdat
	.protected	_Z15sort_key_kernelILj128ELj4ELb0ELb0EN10test_utils16custom_test_typeIsEEEvPT3_jj ; -- Begin function _Z15sort_key_kernelILj128ELj4ELb0ELb0EN10test_utils16custom_test_typeIsEEEvPT3_jj
	.globl	_Z15sort_key_kernelILj128ELj4ELb0ELb0EN10test_utils16custom_test_typeIsEEEvPT3_jj
	.p2align	8
	.type	_Z15sort_key_kernelILj128ELj4ELb0ELb0EN10test_utils16custom_test_typeIsEEEvPT3_jj,@function
_Z15sort_key_kernelILj128ELj4ELb0ELb0EN10test_utils16custom_test_typeIsEEEvPT3_jj: ; @_Z15sort_key_kernelILj128ELj4ELb0ELb0EN10test_utils16custom_test_typeIsEEEvPT3_jj
; %bb.0:
	s_load_b128 s[20:23], s[0:1], 0x0
	v_and_b32_e32 v10, 0x3ff, v0
	s_mov_b32 s19, 0
	s_lshl_b32 s18, s15, 9
	v_mbcnt_lo_u32_b32 v17, -1, 0
	s_lshl_b64 s[2:3], s[18:19], 2
	v_lshlrev_b32_e32 v5, 4, v10
	v_bfe_u32 v25, v0, 10, 10
	v_bfe_u32 v27, v0, 20, 10
	v_lshrrev_b32_e32 v6, 2, v17
	v_and_b32_e32 v20, 3, v17
	v_and_b32_e32 v28, 28, v17
	v_lshlrev_b32_e32 v15, 2, v10
	v_and_b32_e32 v23, 15, v17
	v_lshlrev_b32_e32 v29, 2, v6
	v_and_b32_e32 v21, 16, v17
	v_add_nc_u32_e32 v18, -1, v17
	v_cmp_eq_u32_e64 s6, 0, v17
	v_cmp_eq_u32_e64 s5, 1, v20
	;; [unrolled: 1-line block ×3, first 2 shown]
	s_waitcnt lgkmcnt(0)
	s_add_u32 s12, s20, s2
	s_addc_u32 s13, s21, s3
	s_cmp_lg_u32 s22, 0
	global_load_b128 v[1:4], v5, s[12:13]
	v_add_co_u32 v8, s12, s12, v5
	s_cselect_b32 s11, -1, 0
	s_cmp_lg_u32 s23, 32
	v_cmp_eq_u32_e64 s2, 0, v20
	s_cselect_b32 s14, -1, 0
	v_cmp_eq_u32_e64 s3, 3, v20
	v_or_b32_e32 v30, 32, v28
	v_lshlrev_b32_e32 v16, 5, v10
	v_and_b32_e32 v26, 0x3e0, v10
	v_cmp_gt_u32_e64 s7, 4, v10
	v_cmp_lt_u32_e64 s8, 31, v10
	v_cmp_eq_u32_e64 s9, 0, v10
	v_lshrrev_b32_e32 v24, 3, v10
	v_mul_i32_i24_e32 v22, 0xffffffe4, v10
	v_cmp_lt_u32_e64 s10, 1, v20
	v_add_co_ci_u32_e64 v9, null, s13, 0, s12
	v_and_or_b32 v19, 0xf80, v15, v17
	s_or_b32 s11, s11, s14
	s_delay_alu instid0(SALU_CYCLE_1)
	s_and_b32 vcc_lo, exec_lo, s11
	s_mov_b32 s11, -1
	s_waitcnt vmcnt(0)
	v_lshrrev_b32_e32 v0, 16, v1
	v_lshrrev_b32_e32 v5, 16, v2
	;; [unrolled: 1-line block ×4, first 2 shown]
	v_xor_b32_e32 v1, 0xffff8000, v1
	v_xor_b32_e32 v2, 0xffff8000, v2
	;; [unrolled: 1-line block ×8, first 2 shown]
	v_and_b32_e32 v1, 0xffff, v1
	v_and_b32_e32 v2, 0xffff, v2
	;; [unrolled: 1-line block ×4, first 2 shown]
	v_lshlrev_b32_e32 v0, 16, v0
	v_lshlrev_b32_e32 v5, 16, v5
	;; [unrolled: 1-line block ×4, first 2 shown]
	s_delay_alu instid0(VALU_DEP_4) | instskip(NEXT) | instid1(VALU_DEP_4)
	v_or_b32_e32 v34, v0, v1
	v_or_b32_e32 v31, v5, v2
	s_delay_alu instid0(VALU_DEP_4) | instskip(NEXT) | instid1(VALU_DEP_4)
	v_or_b32_e32 v32, v6, v3
	v_or_b32_e32 v33, v7, v4
	s_cbranch_vccz .LBB2_20
; %bb.1:
	ds_bpermute_b32 v0, v28, v34
	ds_bpermute_b32 v1, v28, v31
	;; [unrolled: 1-line block ×4, first 2 shown]
	ds_bpermute_b32 v11, v28, v34 offset:64
	ds_bpermute_b32 v3, v28, v33
	ds_bpermute_b32 v5, v30, v31
	ds_bpermute_b32 v12, v28, v31 offset:64
	ds_bpermute_b32 v6, v30, v32
	ds_bpermute_b32 v13, v28, v32 offset:64
	ds_bpermute_b32 v14, v29, v34 offset:96
	v_cmp_gt_i32_e32 vcc_lo, 0, v18
	ds_bpermute_b32 v36, v29, v31 offset:96
	ds_bpermute_b32 v7, v30, v33
	ds_bpermute_b32 v35, v28, v33 offset:64
	ds_bpermute_b32 v37, v29, v32 offset:96
	s_mov_b32 s20, s19
	s_mov_b32 s21, s19
	s_waitcnt lgkmcnt(0)
	s_barrier
	v_and_b32_e32 v38, 0xffff0000, v0
	v_cndmask_b32_e64 v0, 0, v0, s2
	buffer_gl0_inv
	v_and_b32_e32 v42, 0xffff0000, v4
	v_cndmask_b32_e64 v4, 0, v4, s2
	v_and_b32_e32 v46, 0xffff0000, v11
	v_cndmask_b32_e64 v0, v0, v1, s5
	s_load_b32 s11, s[0:1], 0x1c
	v_and_b32_e32 v41, 0xffff0000, v3
	v_and_b32_e32 v43, 0xffff0000, v5
	v_cndmask_b32_e64 v38, 0, v38, s2
	v_cndmask_b32_e64 v0, v0, v2, s4
	v_and_b32_e32 v47, 0xffff0000, v12
	v_cndmask_b32_e64 v4, v4, v5, s5
	v_cndmask_b32_e64 v5, 0, v46, s2
	s_mov_b32 s18, s19
	v_and_b32_e32 v39, 0xffff0000, v1
	v_cndmask_b32_e64 v0, v0, v3, s3
	ds_bpermute_b32 v3, v29, v33 offset:96
	v_and_b32_e32 v40, 0xffff0000, v2
	v_and_b32_e32 v44, 0xffff0000, v6
	v_cndmask_b32_e64 v38, v38, v39, s5
	v_and_b32_e32 v39, 0xffff0000, v14
	v_cndmask_b32_e64 v4, v4, v6, s4
	v_cndmask_b32_e64 v6, 0, v11, s2
	v_cndmask_b32_e64 v5, v5, v47, s5
	v_and_b32_e32 v11, 0xffff0000, v13
	v_cndmask_b32_e64 v2, v38, v40, s4
	v_cndmask_b32_e64 v38, 0, v39, s2
	v_and_b32_e32 v39, 0xffff0000, v36
	v_and_b32_e32 v45, 0xffff0000, v7
	v_cndmask_b32_e64 v5, v5, v11, s4
	v_cndmask_b32_e64 v11, 0, v14, s2
	;; [unrolled: 1-line block ×3, first 2 shown]
	v_and_b32_e32 v12, 0xffff0000, v35
	v_cndmask_b32_e64 v14, v38, v39, s5
	v_and_b32_e32 v38, 0xffff0000, v37
	v_cndmask_b32_e64 v7, v4, v7, s3
	v_cndmask_b32_e64 v4, v11, v36, s5
	s_waitcnt lgkmcnt(0)
	s_lshr_b32 s12, s11, 16
	v_cndmask_b32_e64 v6, v6, v13, s4
	v_cndmask_b32_e64 v11, v5, v12, s3
	;; [unrolled: 1-line block ×3, first 2 shown]
	v_and_b32_e32 v12, 0xffff0000, v3
	v_cndmask_b32_e64 v4, v4, v37, s4
	v_mad_u32_u24 v13, v27, s12, v25
	s_and_b32 s11, s11, 0xffff
	v_cndmask_b32_e64 v6, v6, v35, s3
	v_cndmask_b32_e64 v12, v5, v12, s3
	;; [unrolled: 1-line block ×3, first 2 shown]
	v_mad_u64_u32 v[4:5], null, v13, s11, v[10:11]
	v_mov_b32_e32 v13, s20
	v_cndmask_b32_e64 v1, 0, v42, s2
	v_min_u32_e32 v5, 0x60, v26
	v_mov_b32_e32 v14, s21
	v_cndmask_b32_e64 v2, v2, v41, s3
	v_and_b32_e32 v37, 0x7c, v24
	v_cndmask_b32_e64 v1, v1, v43, s5
	v_lshrrev_b32_e32 v36, 5, v4
	v_or_b32_e32 v4, 31, v5
	v_cndmask_b32_e32 v5, v18, v17, vcc_lo
	v_and_or_b32 v0, 0xffff, v0, v2
	v_cndmask_b32_e64 v1, v1, v44, s4
	v_and_or_b32 v2, 0xffff, v6, v11
	v_and_or_b32 v3, 0xffff, v3, v12
	v_mov_b32_e32 v11, s18
	v_or_b32_e32 v35, 16, v16
	v_cndmask_b32_e64 v1, v1, v45, s3
	v_cmp_eq_u32_e64 s11, 0, v23
	v_cmp_lt_u32_e64 s12, 1, v23
	v_cmp_lt_u32_e64 s13, 3, v23
	;; [unrolled: 1-line block ×3, first 2 shown]
	v_and_or_b32 v1, 0xffff, v7, v1
	v_cmp_eq_u32_e64 s15, 0, v21
	v_cmp_eq_u32_e64 s16, v4, v10
	v_lshlrev_b32_e32 v38, 2, v5
	v_add_nc_u32_e32 v39, -4, v37
	v_lshlrev_b32_e32 v40, 2, v19
	v_dual_mov_b32 v12, s19 :: v_dual_add_nc_u32 v41, v16, v22
	s_sub_i32 s20, 0, s22
	s_sub_i32 s21, s23, s22
	s_branch .LBB2_3
.LBB2_2:                                ;   in Loop: Header=BB2_3 Depth=1
	s_barrier
	buffer_gl0_inv
	ds_store_b32 v4, v42
	ds_store_b32 v5, v45
	;; [unrolled: 1-line block ×4, first 2 shown]
	s_waitcnt lgkmcnt(0)
	s_barrier
	buffer_gl0_inv
	ds_load_2addr_b32 v[0:1], v40 offset1:32
	ds_load_2addr_b32 v[2:3], v40 offset0:64 offset1:96
	s_add_i32 s20, s20, -8
	s_add_i32 s21, s21, -8
	s_waitcnt lgkmcnt(0)
	s_barrier
	buffer_gl0_inv
	s_cbranch_execz .LBB2_19
.LBB2_3:                                ; =>This Inner Loop Header: Depth=1
	s_max_i32 s25, s22, 0
	s_max_i32 s24, s20, 0
	s_add_i32 s17, s25, s20
	s_add_i32 s18, s23, s20
	s_min_u32 s19, s21, 8
	s_sub_i32 s17, s17, s24
	s_min_u32 s18, s18, 8
	s_add_i32 s19, s19, s22
	s_cmp_lt_i32 s22, 16
	v_mov_b32_e32 v42, v0
	s_cselect_b32 s26, -1, 0
	s_cmp_gt_i32 s19, 0
	ds_store_2addr_b64 v16, v[11:12], v[13:14] offset0:2 offset1:3
	ds_store_2addr_b64 v35, v[11:12], v[13:14] offset0:2 offset1:3
	s_cselect_b32 s27, -1, 0
	v_lshrrev_b32_e32 v0, 16, v42
	s_and_b32 vcc_lo, s26, s27
	s_cmp_lt_i32 s22, 32
	v_and_b32_e32 v4, 0xffff, v42
	s_cselect_b32 s30, -1, 0
	s_cmp_gt_i32 s19, 16
	v_lshrrev_b32_e32 v0, s25, v0
	s_cselect_b32 s31, -1, 0
	s_max_i32 s27, s22, 16
	s_add_i32 s17, s17, s19
	s_add_i32 s19, s20, 16
	s_add_i32 s27, s27, -16
	s_max_i32 s26, s19, 0
	s_add_i32 s18, s27, s18
	s_min_i32 s17, s17, 16
	s_sub_i32 s18, s18, s26
	s_sub_i32 s17, s17, s25
	s_min_i32 s18, s18, 16
	v_lshrrev_b32_e32 v4, s27, v4
	s_sub_i32 s18, s18, s27
	s_lshl_b32 s17, -1, s17
	s_lshl_b32 s18, -1, s18
	s_not_b32 s28, s17
	s_not_b32 s29, s18
	v_and_b32_e32 v0, s28, v0
	v_and_b32_e32 v4, s29, v4
	s_and_b32 s17, s30, s31
	s_waitcnt lgkmcnt(0)
	s_barrier
	v_lshlrev_b32_e32 v0, s24, v0
	v_lshlrev_b32_e32 v4, s26, v4
	buffer_gl0_inv
	; wave barrier
	v_cndmask_b32_e32 v0, 0, v0, vcc_lo
	v_cndmask_b32_e64 v4, 0, v4, s17
	s_delay_alu instid0(VALU_DEP_1) | instskip(NEXT) | instid1(VALU_DEP_1)
	v_or_b32_e32 v4, v0, v4
	v_and_b32_e32 v0, 1, v4
	v_lshlrev_b32_e32 v5, 30, v4
	v_lshlrev_b32_e32 v6, 29, v4
	v_lshlrev_b32_e32 v7, 28, v4
	v_lshlrev_b32_e32 v44, 27, v4
	v_add_co_u32 v0, s18, v0, -1
	s_delay_alu instid0(VALU_DEP_1)
	v_cndmask_b32_e64 v43, 0, 1, s18
	v_not_b32_e32 v47, v5
	v_cmp_gt_i32_e64 s19, 0, v5
	v_not_b32_e32 v5, v6
	v_lshlrev_b32_e32 v45, 26, v4
	v_cmp_ne_u32_e64 s18, 0, v43
	v_ashrrev_i32_e32 v47, 31, v47
	v_lshlrev_b32_e32 v46, 25, v4
	v_ashrrev_i32_e32 v5, 31, v5
	v_lshlrev_b32_e32 v43, 24, v4
	v_xor_b32_e32 v0, s18, v0
	v_cmp_gt_i32_e64 s18, 0, v6
	v_not_b32_e32 v6, v7
	v_xor_b32_e32 v47, s19, v47
	v_cmp_gt_i32_e64 s19, 0, v7
	v_and_b32_e32 v0, exec_lo, v0
	v_not_b32_e32 v7, v44
	v_ashrrev_i32_e32 v6, 31, v6
	v_xor_b32_e32 v5, s18, v5
	v_cmp_gt_i32_e64 s18, 0, v44
	v_and_b32_e32 v0, v0, v47
	v_not_b32_e32 v44, v45
	v_ashrrev_i32_e32 v7, 31, v7
	v_xor_b32_e32 v6, s19, v6
	v_cmp_gt_i32_e64 s19, 0, v45
	v_and_b32_e32 v0, v0, v5
	;; [unrolled: 5-line block ×4, first 2 shown]
	v_ashrrev_i32_e32 v6, 31, v6
	v_xor_b32_e32 v5, s18, v5
	v_mov_b32_e32 v45, v1
	v_lshl_add_u32 v1, v4, 2, v36
	v_and_b32_e32 v0, v0, v44
	v_mov_b32_e32 v44, v2
	v_xor_b32_e32 v6, s19, v6
	v_mov_b32_e32 v43, v3
	v_lshl_add_u32 v47, v1, 2, 16
	v_and_b32_e32 v0, v0, v5
	s_delay_alu instid0(VALU_DEP_1) | instskip(NEXT) | instid1(VALU_DEP_1)
	v_and_b32_e32 v0, v0, v6
	v_mbcnt_lo_u32_b32 v46, v0, 0
	v_cmp_ne_u32_e64 s19, 0, v0
	s_delay_alu instid0(VALU_DEP_2) | instskip(NEXT) | instid1(VALU_DEP_1)
	v_cmp_eq_u32_e64 s18, 0, v46
	s_and_b32 s19, s18, s19
	s_delay_alu instid0(SALU_CYCLE_1)
	s_and_saveexec_b32 s18, s19
	s_cbranch_execz .LBB2_5
; %bb.4:                                ;   in Loop: Header=BB2_3 Depth=1
	v_bcnt_u32_b32 v0, v0, 0
	ds_store_b32 v47, v0
.LBB2_5:                                ;   in Loop: Header=BB2_3 Depth=1
	s_or_b32 exec_lo, exec_lo, s18
	v_lshrrev_b32_e32 v0, 16, v45
	; wave barrier
	s_delay_alu instid0(VALU_DEP_1) | instskip(NEXT) | instid1(VALU_DEP_1)
	v_lshrrev_b32_e32 v0, s25, v0
	v_and_b32_e32 v0, s28, v0
	s_delay_alu instid0(VALU_DEP_1) | instskip(NEXT) | instid1(VALU_DEP_1)
	v_lshlrev_b32_e32 v0, s24, v0
	v_dual_cndmask_b32 v0, 0, v0 :: v_dual_and_b32 v1, 0xffff, v45
	s_delay_alu instid0(VALU_DEP_1) | instskip(NEXT) | instid1(VALU_DEP_1)
	v_lshrrev_b32_e32 v1, s27, v1
	v_and_b32_e32 v1, s29, v1
	s_delay_alu instid0(VALU_DEP_1) | instskip(NEXT) | instid1(VALU_DEP_1)
	v_lshlrev_b32_e32 v1, s26, v1
	v_cndmask_b32_e64 v1, 0, v1, s17
	s_delay_alu instid0(VALU_DEP_1) | instskip(NEXT) | instid1(VALU_DEP_1)
	v_or_b32_e32 v0, v0, v1
	v_and_b32_e32 v1, 1, v0
	v_lshlrev_b32_e32 v2, 30, v0
	v_lshlrev_b32_e32 v3, 29, v0
	;; [unrolled: 1-line block ×4, first 2 shown]
	v_add_co_u32 v1, s18, v1, -1
	s_delay_alu instid0(VALU_DEP_1)
	v_cndmask_b32_e64 v5, 0, 1, s18
	v_not_b32_e32 v49, v2
	v_cmp_gt_i32_e64 s19, 0, v2
	v_not_b32_e32 v2, v3
	v_lshlrev_b32_e32 v7, 26, v0
	v_cmp_ne_u32_e64 s18, 0, v5
	v_ashrrev_i32_e32 v49, 31, v49
	v_lshlrev_b32_e32 v48, 25, v0
	v_ashrrev_i32_e32 v2, 31, v2
	v_lshlrev_b32_e32 v5, 24, v0
	v_xor_b32_e32 v1, s18, v1
	v_cmp_gt_i32_e64 s18, 0, v3
	v_not_b32_e32 v3, v4
	v_xor_b32_e32 v49, s19, v49
	v_cmp_gt_i32_e64 s19, 0, v4
	v_and_b32_e32 v1, exec_lo, v1
	v_not_b32_e32 v4, v6
	v_ashrrev_i32_e32 v3, 31, v3
	v_xor_b32_e32 v2, s18, v2
	v_cmp_gt_i32_e64 s18, 0, v6
	v_and_b32_e32 v1, v1, v49
	v_not_b32_e32 v6, v7
	v_ashrrev_i32_e32 v4, 31, v4
	v_xor_b32_e32 v3, s19, v3
	v_cmp_gt_i32_e64 s19, 0, v7
	v_and_b32_e32 v1, v1, v2
	;; [unrolled: 5-line block ×3, first 2 shown]
	v_not_b32_e32 v3, v5
	v_ashrrev_i32_e32 v2, 31, v2
	v_xor_b32_e32 v6, s19, v6
	v_lshlrev_b32_e32 v0, 2, v0
	v_and_b32_e32 v1, v1, v4
	v_cmp_gt_i32_e64 s19, 0, v5
	v_ashrrev_i32_e32 v3, 31, v3
	v_xor_b32_e32 v2, s18, v2
	v_add_lshl_u32 v4, v0, v36, 2
	v_and_b32_e32 v1, v1, v6
	s_delay_alu instid0(VALU_DEP_4) | instskip(SKIP_3) | instid1(VALU_DEP_2)
	v_xor_b32_e32 v0, s19, v3
	ds_load_b32 v48, v4 offset:16
	v_and_b32_e32 v1, v1, v2
	v_add_nc_u32_e32 v50, 16, v4
	; wave barrier
	v_and_b32_e32 v0, v1, v0
	s_delay_alu instid0(VALU_DEP_1) | instskip(SKIP_1) | instid1(VALU_DEP_2)
	v_mbcnt_lo_u32_b32 v49, v0, 0
	v_cmp_ne_u32_e64 s19, 0, v0
	v_cmp_eq_u32_e64 s18, 0, v49
	s_delay_alu instid0(VALU_DEP_1) | instskip(NEXT) | instid1(SALU_CYCLE_1)
	s_and_b32 s19, s18, s19
	s_and_saveexec_b32 s18, s19
	s_cbranch_execz .LBB2_7
; %bb.6:                                ;   in Loop: Header=BB2_3 Depth=1
	s_waitcnt lgkmcnt(0)
	v_bcnt_u32_b32 v0, v0, v48
	ds_store_b32 v50, v0
.LBB2_7:                                ;   in Loop: Header=BB2_3 Depth=1
	s_or_b32 exec_lo, exec_lo, s18
	v_lshrrev_b32_e32 v0, 16, v44
	v_and_b32_e32 v1, 0xffff, v44
	; wave barrier
	s_delay_alu instid0(VALU_DEP_2) | instskip(NEXT) | instid1(VALU_DEP_2)
	v_lshrrev_b32_e32 v0, s25, v0
	v_lshrrev_b32_e32 v1, s27, v1
	s_delay_alu instid0(VALU_DEP_2) | instskip(NEXT) | instid1(VALU_DEP_1)
	v_and_b32_e32 v0, s28, v0
	v_lshlrev_b32_e32 v0, s24, v0
	s_delay_alu instid0(VALU_DEP_1) | instskip(NEXT) | instid1(VALU_DEP_1)
	v_dual_cndmask_b32 v0, 0, v0 :: v_dual_and_b32 v1, s29, v1
	v_lshlrev_b32_e32 v1, s26, v1
	s_delay_alu instid0(VALU_DEP_1) | instskip(NEXT) | instid1(VALU_DEP_1)
	v_cndmask_b32_e64 v1, 0, v1, s17
	v_or_b32_e32 v0, v0, v1
	s_delay_alu instid0(VALU_DEP_1)
	v_and_b32_e32 v1, 1, v0
	v_lshlrev_b32_e32 v2, 30, v0
	v_lshlrev_b32_e32 v3, 29, v0
	;; [unrolled: 1-line block ×4, first 2 shown]
	v_add_co_u32 v1, s18, v1, -1
	s_delay_alu instid0(VALU_DEP_1)
	v_cndmask_b32_e64 v5, 0, 1, s18
	v_not_b32_e32 v52, v2
	v_cmp_gt_i32_e64 s19, 0, v2
	v_not_b32_e32 v2, v3
	v_lshlrev_b32_e32 v7, 26, v0
	v_cmp_ne_u32_e64 s18, 0, v5
	v_ashrrev_i32_e32 v52, 31, v52
	v_lshlrev_b32_e32 v51, 25, v0
	v_ashrrev_i32_e32 v2, 31, v2
	v_lshlrev_b32_e32 v5, 24, v0
	v_xor_b32_e32 v1, s18, v1
	v_cmp_gt_i32_e64 s18, 0, v3
	v_not_b32_e32 v3, v4
	v_xor_b32_e32 v52, s19, v52
	v_cmp_gt_i32_e64 s19, 0, v4
	v_and_b32_e32 v1, exec_lo, v1
	v_not_b32_e32 v4, v6
	v_ashrrev_i32_e32 v3, 31, v3
	v_xor_b32_e32 v2, s18, v2
	v_cmp_gt_i32_e64 s18, 0, v6
	v_and_b32_e32 v1, v1, v52
	v_not_b32_e32 v6, v7
	v_ashrrev_i32_e32 v4, 31, v4
	v_xor_b32_e32 v3, s19, v3
	v_cmp_gt_i32_e64 s19, 0, v7
	v_and_b32_e32 v1, v1, v2
	v_not_b32_e32 v2, v51
	v_ashrrev_i32_e32 v6, 31, v6
	v_xor_b32_e32 v4, s18, v4
	v_cmp_gt_i32_e64 s18, 0, v51
	v_and_b32_e32 v1, v1, v3
	v_not_b32_e32 v3, v5
	v_ashrrev_i32_e32 v2, 31, v2
	v_xor_b32_e32 v6, s19, v6
	v_lshlrev_b32_e32 v0, 2, v0
	v_and_b32_e32 v1, v1, v4
	v_cmp_gt_i32_e64 s19, 0, v5
	v_ashrrev_i32_e32 v3, 31, v3
	v_xor_b32_e32 v2, s18, v2
	v_add_lshl_u32 v4, v0, v36, 2
	v_and_b32_e32 v1, v1, v6
	s_delay_alu instid0(VALU_DEP_4) | instskip(SKIP_3) | instid1(VALU_DEP_2)
	v_xor_b32_e32 v0, s19, v3
	ds_load_b32 v51, v4 offset:16
	v_and_b32_e32 v1, v1, v2
	v_add_nc_u32_e32 v53, 16, v4
	; wave barrier
	v_and_b32_e32 v0, v1, v0
	s_delay_alu instid0(VALU_DEP_1) | instskip(SKIP_1) | instid1(VALU_DEP_2)
	v_mbcnt_lo_u32_b32 v52, v0, 0
	v_cmp_ne_u32_e64 s19, 0, v0
	v_cmp_eq_u32_e64 s18, 0, v52
	s_delay_alu instid0(VALU_DEP_1) | instskip(NEXT) | instid1(SALU_CYCLE_1)
	s_and_b32 s19, s18, s19
	s_and_saveexec_b32 s18, s19
	s_cbranch_execz .LBB2_9
; %bb.8:                                ;   in Loop: Header=BB2_3 Depth=1
	s_waitcnt lgkmcnt(0)
	v_bcnt_u32_b32 v0, v0, v51
	ds_store_b32 v53, v0
.LBB2_9:                                ;   in Loop: Header=BB2_3 Depth=1
	s_or_b32 exec_lo, exec_lo, s18
	v_lshrrev_b32_e32 v0, 16, v43
	; wave barrier
	s_delay_alu instid0(VALU_DEP_1) | instskip(NEXT) | instid1(VALU_DEP_1)
	v_lshrrev_b32_e32 v0, s25, v0
	v_and_b32_e32 v0, s28, v0
	s_delay_alu instid0(VALU_DEP_1) | instskip(NEXT) | instid1(VALU_DEP_1)
	v_lshlrev_b32_e32 v0, s24, v0
	v_dual_cndmask_b32 v0, 0, v0 :: v_dual_and_b32 v1, 0xffff, v43
	s_delay_alu instid0(VALU_DEP_1) | instskip(NEXT) | instid1(VALU_DEP_1)
	v_lshrrev_b32_e32 v1, s27, v1
	v_and_b32_e32 v1, s29, v1
	s_delay_alu instid0(VALU_DEP_1) | instskip(NEXT) | instid1(VALU_DEP_1)
	v_lshlrev_b32_e32 v1, s26, v1
	v_cndmask_b32_e64 v1, 0, v1, s17
	s_delay_alu instid0(VALU_DEP_1) | instskip(NEXT) | instid1(VALU_DEP_1)
	v_or_b32_e32 v0, v0, v1
	v_and_b32_e32 v1, 1, v0
	v_lshlrev_b32_e32 v2, 30, v0
	v_lshlrev_b32_e32 v3, 29, v0
	;; [unrolled: 1-line block ×4, first 2 shown]
	v_add_co_u32 v1, s17, v1, -1
	s_delay_alu instid0(VALU_DEP_1)
	v_cndmask_b32_e64 v5, 0, 1, s17
	v_not_b32_e32 v55, v2
	v_cmp_gt_i32_e64 s17, 0, v2
	v_not_b32_e32 v2, v3
	v_lshlrev_b32_e32 v7, 26, v0
	v_cmp_ne_u32_e32 vcc_lo, 0, v5
	v_ashrrev_i32_e32 v55, 31, v55
	v_lshlrev_b32_e32 v54, 25, v0
	v_ashrrev_i32_e32 v2, 31, v2
	v_lshlrev_b32_e32 v5, 24, v0
	v_xor_b32_e32 v1, vcc_lo, v1
	v_cmp_gt_i32_e32 vcc_lo, 0, v3
	v_not_b32_e32 v3, v4
	v_xor_b32_e32 v55, s17, v55
	v_cmp_gt_i32_e64 s17, 0, v4
	v_and_b32_e32 v1, exec_lo, v1
	v_not_b32_e32 v4, v6
	v_ashrrev_i32_e32 v3, 31, v3
	v_xor_b32_e32 v2, vcc_lo, v2
	v_cmp_gt_i32_e32 vcc_lo, 0, v6
	v_and_b32_e32 v1, v1, v55
	v_not_b32_e32 v6, v7
	v_ashrrev_i32_e32 v4, 31, v4
	v_xor_b32_e32 v3, s17, v3
	v_cmp_gt_i32_e64 s17, 0, v7
	v_and_b32_e32 v1, v1, v2
	v_not_b32_e32 v2, v54
	v_ashrrev_i32_e32 v6, 31, v6
	v_xor_b32_e32 v4, vcc_lo, v4
	v_cmp_gt_i32_e32 vcc_lo, 0, v54
	v_and_b32_e32 v1, v1, v3
	v_not_b32_e32 v3, v5
	v_ashrrev_i32_e32 v2, 31, v2
	v_xor_b32_e32 v6, s17, v6
	v_lshlrev_b32_e32 v0, 2, v0
	v_and_b32_e32 v1, v1, v4
	v_cmp_gt_i32_e64 s17, 0, v5
	v_ashrrev_i32_e32 v3, 31, v3
	v_xor_b32_e32 v2, vcc_lo, v2
	v_add_lshl_u32 v4, v0, v36, 2
	v_and_b32_e32 v1, v1, v6
	s_delay_alu instid0(VALU_DEP_4) | instskip(SKIP_3) | instid1(VALU_DEP_2)
	v_xor_b32_e32 v0, s17, v3
	ds_load_b32 v54, v4 offset:16
	v_and_b32_e32 v1, v1, v2
	v_add_nc_u32_e32 v56, 16, v4
	; wave barrier
	v_and_b32_e32 v0, v1, v0
	s_delay_alu instid0(VALU_DEP_1) | instskip(SKIP_1) | instid1(VALU_DEP_2)
	v_mbcnt_lo_u32_b32 v55, v0, 0
	v_cmp_ne_u32_e64 s17, 0, v0
	v_cmp_eq_u32_e32 vcc_lo, 0, v55
	s_delay_alu instid0(VALU_DEP_2) | instskip(NEXT) | instid1(SALU_CYCLE_1)
	s_and_b32 s18, vcc_lo, s17
	s_and_saveexec_b32 s17, s18
	s_cbranch_execz .LBB2_11
; %bb.10:                               ;   in Loop: Header=BB2_3 Depth=1
	s_waitcnt lgkmcnt(0)
	v_bcnt_u32_b32 v0, v0, v54
	ds_store_b32 v56, v0
.LBB2_11:                               ;   in Loop: Header=BB2_3 Depth=1
	s_or_b32 exec_lo, exec_lo, s17
	; wave barrier
	s_waitcnt lgkmcnt(0)
	s_barrier
	buffer_gl0_inv
	ds_load_2addr_b64 v[4:7], v16 offset0:2 offset1:3
	ds_load_2addr_b64 v[0:3], v35 offset0:2 offset1:3
	s_waitcnt lgkmcnt(1)
	v_add_nc_u32_e32 v57, v5, v4
	s_delay_alu instid0(VALU_DEP_1) | instskip(SKIP_1) | instid1(VALU_DEP_1)
	v_add3_u32 v57, v57, v6, v7
	s_waitcnt lgkmcnt(0)
	v_add3_u32 v57, v57, v0, v1
	s_delay_alu instid0(VALU_DEP_1) | instskip(NEXT) | instid1(VALU_DEP_1)
	v_add3_u32 v3, v57, v2, v3
	v_mov_b32_dpp v57, v3 row_shr:1 row_mask:0xf bank_mask:0xf
	s_delay_alu instid0(VALU_DEP_1) | instskip(NEXT) | instid1(VALU_DEP_1)
	v_cndmask_b32_e64 v57, v57, 0, s11
	v_add_nc_u32_e32 v3, v57, v3
	s_delay_alu instid0(VALU_DEP_1) | instskip(NEXT) | instid1(VALU_DEP_1)
	v_mov_b32_dpp v57, v3 row_shr:2 row_mask:0xf bank_mask:0xf
	v_cndmask_b32_e64 v57, 0, v57, s12
	s_delay_alu instid0(VALU_DEP_1) | instskip(NEXT) | instid1(VALU_DEP_1)
	v_add_nc_u32_e32 v3, v3, v57
	v_mov_b32_dpp v57, v3 row_shr:4 row_mask:0xf bank_mask:0xf
	s_delay_alu instid0(VALU_DEP_1) | instskip(NEXT) | instid1(VALU_DEP_1)
	v_cndmask_b32_e64 v57, 0, v57, s13
	v_add_nc_u32_e32 v3, v3, v57
	s_delay_alu instid0(VALU_DEP_1) | instskip(NEXT) | instid1(VALU_DEP_1)
	v_mov_b32_dpp v57, v3 row_shr:8 row_mask:0xf bank_mask:0xf
	v_cndmask_b32_e64 v57, 0, v57, s14
	s_delay_alu instid0(VALU_DEP_1) | instskip(SKIP_3) | instid1(VALU_DEP_1)
	v_add_nc_u32_e32 v3, v3, v57
	ds_swizzle_b32 v57, v3 offset:swizzle(BROADCAST,32,15)
	s_waitcnt lgkmcnt(0)
	v_cndmask_b32_e64 v57, v57, 0, s15
	v_add_nc_u32_e32 v3, v3, v57
	s_and_saveexec_b32 s17, s16
	s_cbranch_execz .LBB2_13
; %bb.12:                               ;   in Loop: Header=BB2_3 Depth=1
	ds_store_b32 v37, v3
.LBB2_13:                               ;   in Loop: Header=BB2_3 Depth=1
	s_or_b32 exec_lo, exec_lo, s17
	s_waitcnt lgkmcnt(0)
	s_barrier
	buffer_gl0_inv
	s_and_saveexec_b32 s17, s7
	s_cbranch_execz .LBB2_15
; %bb.14:                               ;   in Loop: Header=BB2_3 Depth=1
	ds_load_b32 v57, v41
	s_waitcnt lgkmcnt(0)
	v_mov_b32_dpp v58, v57 row_shr:1 row_mask:0xf bank_mask:0xf
	s_delay_alu instid0(VALU_DEP_1) | instskip(NEXT) | instid1(VALU_DEP_1)
	v_cndmask_b32_e64 v58, v58, 0, s2
	v_add_nc_u32_e32 v57, v58, v57
	s_delay_alu instid0(VALU_DEP_1) | instskip(NEXT) | instid1(VALU_DEP_1)
	v_mov_b32_dpp v58, v57 row_shr:2 row_mask:0xf bank_mask:0xf
	v_cndmask_b32_e64 v58, 0, v58, s10
	s_delay_alu instid0(VALU_DEP_1)
	v_add_nc_u32_e32 v57, v57, v58
	ds_store_b32 v41, v57
.LBB2_15:                               ;   in Loop: Header=BB2_3 Depth=1
	s_or_b32 exec_lo, exec_lo, s17
	v_mov_b32_e32 v57, 0
	s_waitcnt lgkmcnt(0)
	s_barrier
	buffer_gl0_inv
	s_and_saveexec_b32 s17, s8
	s_cbranch_execz .LBB2_17
; %bb.16:                               ;   in Loop: Header=BB2_3 Depth=1
	ds_load_b32 v57, v39
.LBB2_17:                               ;   in Loop: Header=BB2_3 Depth=1
	s_or_b32 exec_lo, exec_lo, s17
	s_waitcnt lgkmcnt(0)
	v_add_nc_u32_e32 v3, v57, v3
	s_add_i32 s22, s22, 8
	s_delay_alu instid0(SALU_CYCLE_1) | instskip(SKIP_3) | instid1(VALU_DEP_1)
	s_cmp_ge_u32 s22, s23
	ds_bpermute_b32 v3, v38, v3
	s_waitcnt lgkmcnt(0)
	v_cndmask_b32_e64 v3, v3, v57, s6
	v_cndmask_b32_e64 v3, v3, 0, s9
	s_delay_alu instid0(VALU_DEP_1) | instskip(NEXT) | instid1(VALU_DEP_1)
	v_add_nc_u32_e32 v4, v3, v4
	v_add_nc_u32_e32 v5, v4, v5
	s_delay_alu instid0(VALU_DEP_1) | instskip(NEXT) | instid1(VALU_DEP_1)
	v_add_nc_u32_e32 v6, v5, v6
	v_add_nc_u32_e32 v57, v6, v7
	v_lshlrev_b32_e32 v7, 2, v52
	s_delay_alu instid0(VALU_DEP_2) | instskip(NEXT) | instid1(VALU_DEP_1)
	v_add_nc_u32_e32 v58, v57, v0
	v_add_nc_u32_e32 v0, v58, v1
	s_delay_alu instid0(VALU_DEP_1)
	v_add_nc_u32_e32 v1, v0, v2
	ds_store_2addr_b64 v16, v[3:4], v[5:6] offset0:2 offset1:3
	ds_store_2addr_b64 v35, v[57:58], v[0:1] offset0:2 offset1:3
	s_waitcnt lgkmcnt(0)
	s_barrier
	buffer_gl0_inv
	ds_load_b32 v0, v50
	ds_load_b32 v1, v53
	;; [unrolled: 1-line block ×4, first 2 shown]
	v_lshlrev_b32_e32 v4, 2, v46
	v_lshlrev_b32_e32 v5, 2, v49
	;; [unrolled: 1-line block ×6, first 2 shown]
	s_waitcnt lgkmcnt(0)
	v_lshlrev_b32_e32 v0, 2, v0
	v_lshlrev_b32_e32 v1, 2, v1
	;; [unrolled: 1-line block ×3, first 2 shown]
	v_lshl_add_u32 v4, v3, 2, v4
	s_delay_alu instid0(VALU_DEP_4) | instskip(NEXT) | instid1(VALU_DEP_4)
	v_add3_u32 v5, v5, v6, v0
	v_add3_u32 v6, v7, v46, v1
	s_delay_alu instid0(VALU_DEP_4)
	v_add3_u32 v7, v47, v48, v2
	s_cbranch_scc0 .LBB2_2
; %bb.18:
                                        ; implicit-def: $vgpr0
                                        ; implicit-def: $vgpr2
                                        ; implicit-def: $sgpr20
                                        ; implicit-def: $sgpr21
.LBB2_19:
	s_mov_b32 s11, 0
	s_barrier
	buffer_gl0_inv
	ds_store_b32 v4, v42
	ds_store_b32 v5, v45
	;; [unrolled: 1-line block ×4, first 2 shown]
	s_waitcnt lgkmcnt(0)
	s_barrier
.LBB2_20:
	s_and_b32 vcc_lo, exec_lo, s11
	s_cbranch_vccz .LBB2_68
; %bb.21:
	ds_bpermute_b32 v40, v28, v34
	ds_bpermute_b32 v36, v28, v31
	;; [unrolled: 1-line block ×4, first 2 shown]
	s_mov_b32 s6, 0
	ds_bpermute_b32 v41, v30, v34
	s_mov_b32 s7, s6
	s_mov_b32 s8, s6
	;; [unrolled: 1-line block ×3, first 2 shown]
	ds_bpermute_b32 v37, v30, v31
	ds_bpermute_b32 v35, v30, v32
	;; [unrolled: 1-line block ×3, first 2 shown]
	ds_bpermute_b32 v42, v28, v34 offset:64
	ds_bpermute_b32 v39, v28, v31 offset:64
	;; [unrolled: 1-line block ×6, first 2 shown]
	s_waitcnt lgkmcnt(0)
	s_barrier
	v_and_b32_e32 v0, 0xffff0000, v40
	v_and_b32_e32 v1, 0xffff0000, v36
	;; [unrolled: 1-line block ×3, first 2 shown]
	buffer_gl0_inv
	s_load_b32 s1, s[0:1], 0x1c
	v_cndmask_b32_e64 v0, 0, v0, s2
	ds_bpermute_b32 v38, v28, v32 offset:64
	ds_bpermute_b32 v28, v28, v33 offset:64
	v_cndmask_b32_e64 v0, v0, v1, s5
	v_and_b32_e32 v1, 0xffff0000, v11
	s_delay_alu instid0(VALU_DEP_2) | instskip(NEXT) | instid1(VALU_DEP_1)
	v_cndmask_b32_e64 v0, v0, v2, s4
	v_cndmask_b32_e64 v29, v0, v1, s3
	s_waitcnt lgkmcnt(0)
	s_lshr_b32 s10, s1, 16
	s_delay_alu instid0(VALU_DEP_1)
	v_bfe_u32 v0, v29, 16, 1
	v_lshlrev_b32_e32 v1, 14, v29
	v_lshlrev_b32_e32 v2, 13, v29
	;; [unrolled: 1-line block ×4, first 2 shown]
	v_add_co_u32 v0, s0, v0, -1
	s_delay_alu instid0(VALU_DEP_1)
	v_cndmask_b32_e64 v4, 0, 1, s0
	v_not_b32_e32 v14, v1
	v_cmp_gt_i32_e64 s0, 0, v1
	v_not_b32_e32 v1, v2
	v_lshlrev_b32_e32 v6, 10, v29
	v_cmp_ne_u32_e32 vcc_lo, 0, v4
	v_ashrrev_i32_e32 v14, 31, v14
	v_lshlrev_b32_e32 v7, 9, v29
	v_ashrrev_i32_e32 v1, 31, v1
	v_lshlrev_b32_e32 v4, 8, v29
	v_xor_b32_e32 v0, vcc_lo, v0
	v_cmp_gt_i32_e32 vcc_lo, 0, v2
	v_not_b32_e32 v2, v3
	v_xor_b32_e32 v14, s0, v14
	v_cmp_gt_i32_e64 s0, 0, v3
	v_and_b32_e32 v0, exec_lo, v0
	v_not_b32_e32 v3, v5
	v_ashrrev_i32_e32 v2, 31, v2
	v_xor_b32_e32 v1, vcc_lo, v1
	v_cmp_gt_i32_e32 vcc_lo, 0, v5
	v_and_b32_e32 v0, v0, v14
	v_not_b32_e32 v5, v6
	v_ashrrev_i32_e32 v3, 31, v3
	v_xor_b32_e32 v2, s0, v2
	v_cmp_gt_i32_e64 s0, 0, v6
	v_and_b32_e32 v0, v0, v1
	v_not_b32_e32 v1, v7
	v_ashrrev_i32_e32 v5, 31, v5
	v_xor_b32_e32 v3, vcc_lo, v3
	v_cmp_gt_i32_e32 vcc_lo, 0, v7
	v_and_b32_e32 v0, v0, v2
	v_not_b32_e32 v2, v4
	v_ashrrev_i32_e32 v1, 31, v1
	v_xor_b32_e32 v5, s0, v5
	v_cmp_gt_i32_e64 s0, 0, v4
	v_and_b32_e32 v0, v0, v3
	v_ashrrev_i32_e32 v2, 31, v2
	v_xor_b32_e32 v1, vcc_lo, v1
	s_delay_alu instid0(VALU_DEP_3) | instskip(SKIP_1) | instid1(VALU_DEP_4)
	v_and_b32_e32 v0, v0, v5
	v_mad_u32_u24 v5, v27, s10, v25
	v_xor_b32_e32 v6, s0, v2
	s_and_b32 s0, s1, 0xffff
	s_delay_alu instid0(VALU_DEP_3) | instskip(NEXT) | instid1(VALU_DEP_3)
	v_and_b32_e32 v0, v0, v1
	v_mad_u64_u32 v[3:4], null, v5, s0, v[10:11]
	v_dual_mov_b32 v4, s8 :: v_dual_mov_b32 v1, s6
	s_delay_alu instid0(VALU_DEP_3)
	v_and_b32_e32 v0, v0, v6
	v_dual_mov_b32 v2, s7 :: v_dual_mov_b32 v5, s9
	v_lshrrev_b32_e32 v6, 14, v29
	ds_store_2addr_b64 v16, v[1:2], v[4:5] offset0:2 offset1:3
	ds_store_2addr_b64 v16, v[1:2], v[4:5] offset0:4 offset1:5
	v_mbcnt_lo_u32_b32 v33, v0, 0
	v_lshrrev_b32_e32 v14, 5, v3
	v_and_b32_e32 v1, 0x3fc, v6
	v_cmp_ne_u32_e64 s0, 0, v0
	s_waitcnt lgkmcnt(0)
	v_cmp_eq_u32_e32 vcc_lo, 0, v33
	s_barrier
	v_add_lshl_u32 v27, v1, v14, 2
	buffer_gl0_inv
	s_and_b32 s1, vcc_lo, s0
	; wave barrier
	s_delay_alu instid0(SALU_CYCLE_1)
	s_and_saveexec_b32 s0, s1
	s_cbranch_execz .LBB2_23
; %bb.22:
	v_bcnt_u32_b32 v0, v0, 0
	ds_store_b32 v27, v0 offset:16
.LBB2_23:
	s_or_b32 exec_lo, exec_lo, s0
	v_and_b32_e32 v0, 0xffff0000, v41
	v_and_b32_e32 v1, 0xffff0000, v37
	;; [unrolled: 1-line block ×3, first 2 shown]
	; wave barrier
	s_delay_alu instid0(VALU_DEP_3) | instskip(NEXT) | instid1(VALU_DEP_1)
	v_cndmask_b32_e64 v0, 0, v0, s2
	v_cndmask_b32_e64 v0, v0, v1, s5
	v_and_b32_e32 v1, 0xffff0000, v13
	s_delay_alu instid0(VALU_DEP_2) | instskip(NEXT) | instid1(VALU_DEP_1)
	v_cndmask_b32_e64 v0, v0, v2, s4
	v_cndmask_b32_e64 v32, v0, v1, s3
	s_delay_alu instid0(VALU_DEP_1)
	v_bfe_u32 v1, v32, 16, 1
	v_lshlrev_b32_e32 v2, 14, v32
	v_lshlrev_b32_e32 v3, 13, v32
	;; [unrolled: 1-line block ×4, first 2 shown]
	v_add_co_u32 v1, s0, v1, -1
	s_delay_alu instid0(VALU_DEP_1)
	v_cndmask_b32_e64 v5, 0, 1, s0
	v_not_b32_e32 v44, v2
	v_cmp_gt_i32_e64 s0, 0, v2
	v_not_b32_e32 v2, v3
	v_lshlrev_b32_e32 v7, 10, v32
	v_cmp_ne_u32_e32 vcc_lo, 0, v5
	v_ashrrev_i32_e32 v44, 31, v44
	v_lshlrev_b32_e32 v25, 9, v32
	v_ashrrev_i32_e32 v2, 31, v2
	v_lshlrev_b32_e32 v5, 8, v32
	v_xor_b32_e32 v1, vcc_lo, v1
	v_cmp_gt_i32_e32 vcc_lo, 0, v3
	v_not_b32_e32 v3, v4
	v_xor_b32_e32 v44, s0, v44
	v_cmp_gt_i32_e64 s0, 0, v4
	v_and_b32_e32 v1, exec_lo, v1
	v_not_b32_e32 v4, v6
	v_ashrrev_i32_e32 v3, 31, v3
	v_xor_b32_e32 v2, vcc_lo, v2
	v_cmp_gt_i32_e32 vcc_lo, 0, v6
	v_and_b32_e32 v1, v1, v44
	v_not_b32_e32 v6, v7
	v_ashrrev_i32_e32 v4, 31, v4
	v_xor_b32_e32 v3, s0, v3
	v_cmp_gt_i32_e64 s0, 0, v7
	v_and_b32_e32 v1, v1, v2
	v_not_b32_e32 v2, v25
	v_ashrrev_i32_e32 v6, 31, v6
	v_xor_b32_e32 v4, vcc_lo, v4
	v_lshrrev_b32_e32 v0, 14, v32
	v_and_b32_e32 v1, v1, v3
	v_cmp_gt_i32_e32 vcc_lo, 0, v25
	v_not_b32_e32 v3, v5
	v_ashrrev_i32_e32 v2, 31, v2
	v_xor_b32_e32 v6, s0, v6
	v_and_b32_e32 v1, v1, v4
	v_and_b32_e32 v0, 0x3fc, v0
	v_cmp_gt_i32_e64 s0, 0, v5
	v_ashrrev_i32_e32 v3, 31, v3
	v_xor_b32_e32 v2, vcc_lo, v2
	v_and_b32_e32 v1, v1, v6
	v_add_lshl_u32 v44, v0, v14, 2
	s_delay_alu instid0(VALU_DEP_4) | instskip(NEXT) | instid1(VALU_DEP_3)
	v_xor_b32_e32 v0, s0, v3
	v_and_b32_e32 v1, v1, v2
	ds_load_b32 v46, v44 offset:16
	; wave barrier
	v_and_b32_e32 v0, v1, v0
	s_delay_alu instid0(VALU_DEP_1) | instskip(SKIP_1) | instid1(VALU_DEP_2)
	v_mbcnt_lo_u32_b32 v47, v0, 0
	v_cmp_ne_u32_e64 s0, 0, v0
	v_cmp_eq_u32_e32 vcc_lo, 0, v47
	s_delay_alu instid0(VALU_DEP_2) | instskip(NEXT) | instid1(SALU_CYCLE_1)
	s_and_b32 s1, vcc_lo, s0
	s_and_saveexec_b32 s0, s1
	s_cbranch_execz .LBB2_25
; %bb.24:
	s_waitcnt lgkmcnt(0)
	v_bcnt_u32_b32 v0, v0, v46
	ds_store_b32 v44, v0 offset:16
.LBB2_25:
	s_or_b32 exec_lo, exec_lo, s0
	v_and_b32_e32 v0, 0xffff0000, v42
	v_and_b32_e32 v1, 0xffff0000, v39
	;; [unrolled: 1-line block ×3, first 2 shown]
	; wave barrier
	s_delay_alu instid0(VALU_DEP_3) | instskip(NEXT) | instid1(VALU_DEP_1)
	v_cndmask_b32_e64 v0, 0, v0, s2
	v_cndmask_b32_e64 v0, v0, v1, s5
	v_and_b32_e32 v1, 0xffff0000, v28
	s_delay_alu instid0(VALU_DEP_2) | instskip(NEXT) | instid1(VALU_DEP_1)
	v_cndmask_b32_e64 v0, v0, v2, s4
	v_cndmask_b32_e64 v45, v0, v1, s3
	s_delay_alu instid0(VALU_DEP_1)
	v_bfe_u32 v1, v45, 16, 1
	v_lshlrev_b32_e32 v2, 14, v45
	v_lshlrev_b32_e32 v3, 13, v45
	;; [unrolled: 1-line block ×4, first 2 shown]
	v_add_co_u32 v1, s0, v1, -1
	s_delay_alu instid0(VALU_DEP_1)
	v_cndmask_b32_e64 v5, 0, 1, s0
	v_not_b32_e32 v48, v2
	v_cmp_gt_i32_e64 s0, 0, v2
	v_not_b32_e32 v2, v3
	v_lshlrev_b32_e32 v7, 10, v45
	v_cmp_ne_u32_e32 vcc_lo, 0, v5
	v_ashrrev_i32_e32 v48, 31, v48
	v_lshlrev_b32_e32 v25, 9, v45
	v_ashrrev_i32_e32 v2, 31, v2
	v_lshlrev_b32_e32 v5, 8, v45
	v_xor_b32_e32 v1, vcc_lo, v1
	v_cmp_gt_i32_e32 vcc_lo, 0, v3
	v_not_b32_e32 v3, v4
	v_xor_b32_e32 v48, s0, v48
	v_cmp_gt_i32_e64 s0, 0, v4
	v_and_b32_e32 v1, exec_lo, v1
	v_not_b32_e32 v4, v6
	v_ashrrev_i32_e32 v3, 31, v3
	v_xor_b32_e32 v2, vcc_lo, v2
	v_cmp_gt_i32_e32 vcc_lo, 0, v6
	v_and_b32_e32 v1, v1, v48
	v_not_b32_e32 v6, v7
	v_ashrrev_i32_e32 v4, 31, v4
	v_xor_b32_e32 v3, s0, v3
	v_cmp_gt_i32_e64 s0, 0, v7
	v_and_b32_e32 v1, v1, v2
	v_not_b32_e32 v2, v25
	v_ashrrev_i32_e32 v6, 31, v6
	v_xor_b32_e32 v4, vcc_lo, v4
	v_lshrrev_b32_e32 v0, 14, v45
	v_and_b32_e32 v1, v1, v3
	v_cmp_gt_i32_e32 vcc_lo, 0, v25
	v_not_b32_e32 v3, v5
	v_ashrrev_i32_e32 v2, 31, v2
	v_xor_b32_e32 v6, s0, v6
	v_and_b32_e32 v1, v1, v4
	v_and_b32_e32 v0, 0x3fc, v0
	v_cmp_gt_i32_e64 s0, 0, v5
	v_ashrrev_i32_e32 v3, 31, v3
	v_xor_b32_e32 v2, vcc_lo, v2
	v_and_b32_e32 v1, v1, v6
	v_add_lshl_u32 v48, v0, v14, 2
	s_delay_alu instid0(VALU_DEP_4) | instskip(NEXT) | instid1(VALU_DEP_3)
	v_xor_b32_e32 v0, s0, v3
	v_and_b32_e32 v1, v1, v2
	ds_load_b32 v49, v48 offset:16
	; wave barrier
	v_and_b32_e32 v0, v1, v0
	s_delay_alu instid0(VALU_DEP_1) | instskip(SKIP_1) | instid1(VALU_DEP_2)
	v_mbcnt_lo_u32_b32 v51, v0, 0
	v_cmp_ne_u32_e64 s0, 0, v0
	v_cmp_eq_u32_e32 vcc_lo, 0, v51
	s_delay_alu instid0(VALU_DEP_2) | instskip(NEXT) | instid1(SALU_CYCLE_1)
	s_and_b32 s1, vcc_lo, s0
	s_and_saveexec_b32 s0, s1
	s_cbranch_execz .LBB2_27
; %bb.26:
	s_waitcnt lgkmcnt(0)
	v_bcnt_u32_b32 v0, v0, v49
	ds_store_b32 v48, v0 offset:16
.LBB2_27:
	s_or_b32 exec_lo, exec_lo, s0
	v_and_b32_e32 v0, 0xffff0000, v43
	v_and_b32_e32 v1, 0xffff0000, v34
	;; [unrolled: 1-line block ×3, first 2 shown]
	; wave barrier
	s_delay_alu instid0(VALU_DEP_3) | instskip(SKIP_1) | instid1(VALU_DEP_2)
	v_cndmask_b32_e64 v0, 0, v0, s2
	v_min_u32_e32 v26, 0x60, v26
	v_cndmask_b32_e64 v0, v0, v1, s5
	v_and_b32_e32 v1, 0xffff0000, v30
	s_delay_alu instid0(VALU_DEP_2) | instskip(NEXT) | instid1(VALU_DEP_1)
	v_cndmask_b32_e64 v0, v0, v2, s4
	v_cndmask_b32_e64 v50, v0, v1, s3
	s_delay_alu instid0(VALU_DEP_1)
	v_bfe_u32 v1, v50, 16, 1
	v_lshlrev_b32_e32 v2, 14, v50
	v_lshlrev_b32_e32 v3, 13, v50
	;; [unrolled: 1-line block ×4, first 2 shown]
	v_add_co_u32 v1, s0, v1, -1
	s_delay_alu instid0(VALU_DEP_1)
	v_cndmask_b32_e64 v5, 0, 1, s0
	v_not_b32_e32 v52, v2
	v_cmp_gt_i32_e64 s0, 0, v2
	v_not_b32_e32 v2, v3
	v_lshlrev_b32_e32 v7, 10, v50
	v_cmp_ne_u32_e32 vcc_lo, 0, v5
	v_ashrrev_i32_e32 v52, 31, v52
	v_lshlrev_b32_e32 v25, 9, v50
	v_ashrrev_i32_e32 v2, 31, v2
	v_lshlrev_b32_e32 v5, 8, v50
	v_xor_b32_e32 v1, vcc_lo, v1
	v_cmp_gt_i32_e32 vcc_lo, 0, v3
	v_not_b32_e32 v3, v4
	v_xor_b32_e32 v52, s0, v52
	v_cmp_gt_i32_e64 s0, 0, v4
	v_and_b32_e32 v1, exec_lo, v1
	v_not_b32_e32 v4, v6
	v_ashrrev_i32_e32 v3, 31, v3
	v_xor_b32_e32 v2, vcc_lo, v2
	v_cmp_gt_i32_e32 vcc_lo, 0, v6
	v_and_b32_e32 v1, v1, v52
	v_not_b32_e32 v6, v7
	v_ashrrev_i32_e32 v4, 31, v4
	v_xor_b32_e32 v3, s0, v3
	v_cmp_gt_i32_e64 s0, 0, v7
	v_and_b32_e32 v1, v1, v2
	v_not_b32_e32 v2, v25
	v_ashrrev_i32_e32 v6, 31, v6
	v_xor_b32_e32 v4, vcc_lo, v4
	v_lshrrev_b32_e32 v0, 14, v50
	v_and_b32_e32 v1, v1, v3
	v_cmp_gt_i32_e32 vcc_lo, 0, v25
	v_not_b32_e32 v3, v5
	v_ashrrev_i32_e32 v2, 31, v2
	v_xor_b32_e32 v6, s0, v6
	v_and_b32_e32 v1, v1, v4
	v_and_b32_e32 v0, 0x3fc, v0
	v_cmp_gt_i32_e64 s0, 0, v5
	v_ashrrev_i32_e32 v3, 31, v3
	v_xor_b32_e32 v2, vcc_lo, v2
	v_and_b32_e32 v1, v1, v6
	v_add_lshl_u32 v54, v0, v14, 2
	v_or_b32_e32 v25, 16, v16
	v_xor_b32_e32 v0, s0, v3
	s_delay_alu instid0(VALU_DEP_4) | instskip(SKIP_2) | instid1(VALU_DEP_1)
	v_and_b32_e32 v1, v1, v2
	ds_load_b32 v52, v54 offset:16
	; wave barrier
	v_and_b32_e32 v0, v1, v0
	v_mbcnt_lo_u32_b32 v53, v0, 0
	v_cmp_ne_u32_e64 s0, 0, v0
	s_delay_alu instid0(VALU_DEP_2) | instskip(NEXT) | instid1(VALU_DEP_2)
	v_cmp_eq_u32_e32 vcc_lo, 0, v53
	s_and_b32 s1, vcc_lo, s0
	s_delay_alu instid0(SALU_CYCLE_1)
	s_and_saveexec_b32 s0, s1
	s_cbranch_execz .LBB2_29
; %bb.28:
	s_waitcnt lgkmcnt(0)
	v_bcnt_u32_b32 v0, v0, v52
	ds_store_b32 v54, v0 offset:16
.LBB2_29:
	s_or_b32 exec_lo, exec_lo, s0
	; wave barrier
	s_waitcnt lgkmcnt(0)
	s_barrier
	buffer_gl0_inv
	ds_load_2addr_b64 v[4:7], v16 offset0:2 offset1:3
	ds_load_2addr_b64 v[0:3], v25 offset0:2 offset1:3
	v_cmp_eq_u32_e64 s0, 0, v23
	v_cmp_lt_u32_e64 s1, 1, v23
	v_cmp_lt_u32_e64 s6, 3, v23
	;; [unrolled: 1-line block ×3, first 2 shown]
	v_or_b32_e32 v26, 31, v26
	v_cmp_eq_u32_e64 s8, 0, v21
	v_and_b32_e32 v21, 0x7c, v24
	s_delay_alu instid0(VALU_DEP_3) | instskip(SKIP_2) | instid1(VALU_DEP_1)
	v_cmp_eq_u32_e64 s9, v26, v10
	s_waitcnt lgkmcnt(1)
	v_add_nc_u32_e32 v55, v5, v4
	v_add3_u32 v55, v55, v6, v7
	s_waitcnt lgkmcnt(0)
	s_delay_alu instid0(VALU_DEP_1) | instskip(NEXT) | instid1(VALU_DEP_1)
	v_add3_u32 v55, v55, v0, v1
	v_add3_u32 v3, v55, v2, v3
	s_delay_alu instid0(VALU_DEP_1) | instskip(NEXT) | instid1(VALU_DEP_1)
	v_mov_b32_dpp v55, v3 row_shr:1 row_mask:0xf bank_mask:0xf
	v_cndmask_b32_e64 v55, v55, 0, s0
	s_delay_alu instid0(VALU_DEP_1) | instskip(NEXT) | instid1(VALU_DEP_1)
	v_add_nc_u32_e32 v3, v55, v3
	v_mov_b32_dpp v55, v3 row_shr:2 row_mask:0xf bank_mask:0xf
	s_delay_alu instid0(VALU_DEP_1) | instskip(NEXT) | instid1(VALU_DEP_1)
	v_cndmask_b32_e64 v55, 0, v55, s1
	v_add_nc_u32_e32 v3, v3, v55
	s_delay_alu instid0(VALU_DEP_1) | instskip(NEXT) | instid1(VALU_DEP_1)
	v_mov_b32_dpp v55, v3 row_shr:4 row_mask:0xf bank_mask:0xf
	v_cndmask_b32_e64 v55, 0, v55, s6
	s_delay_alu instid0(VALU_DEP_1) | instskip(NEXT) | instid1(VALU_DEP_1)
	v_add_nc_u32_e32 v3, v3, v55
	v_mov_b32_dpp v55, v3 row_shr:8 row_mask:0xf bank_mask:0xf
	s_delay_alu instid0(VALU_DEP_1) | instskip(SKIP_1) | instid1(VALU_DEP_2)
	v_cndmask_b32_e64 v23, 0, v55, s7
	v_bfe_i32 v55, v17, 4, 1
	v_add_nc_u32_e32 v3, v3, v23
	ds_swizzle_b32 v23, v3 offset:swizzle(BROADCAST,32,15)
	s_waitcnt lgkmcnt(0)
	v_and_b32_e32 v23, v55, v23
	s_delay_alu instid0(VALU_DEP_1)
	v_add_nc_u32_e32 v3, v3, v23
	s_and_saveexec_b32 s10, s9
	s_cbranch_execz .LBB2_31
; %bb.30:
	ds_store_b32 v21, v3
.LBB2_31:
	s_or_b32 exec_lo, exec_lo, s10
	v_cmp_gt_u32_e64 s10, 4, v10
	v_cmp_lt_u32_e64 s11, 1, v20
	v_add_nc_u32_e32 v20, v16, v22
	s_waitcnt lgkmcnt(0)
	s_barrier
	buffer_gl0_inv
	s_and_saveexec_b32 s12, s10
	s_cbranch_execz .LBB2_33
; %bb.32:
	ds_load_b32 v22, v20
	s_waitcnt lgkmcnt(0)
	v_mov_b32_dpp v23, v22 row_shr:1 row_mask:0xf bank_mask:0xf
	s_delay_alu instid0(VALU_DEP_1) | instskip(NEXT) | instid1(VALU_DEP_1)
	v_cndmask_b32_e64 v23, v23, 0, s2
	v_add_nc_u32_e32 v22, v23, v22
	s_delay_alu instid0(VALU_DEP_1) | instskip(NEXT) | instid1(VALU_DEP_1)
	v_mov_b32_dpp v23, v22 row_shr:2 row_mask:0xf bank_mask:0xf
	v_cndmask_b32_e64 v23, 0, v23, s11
	s_delay_alu instid0(VALU_DEP_1)
	v_add_nc_u32_e32 v22, v22, v23
	ds_store_b32 v20, v22
.LBB2_33:
	s_or_b32 exec_lo, exec_lo, s12
	v_cmp_lt_u32_e64 s12, 31, v10
	v_dual_mov_b32 v23, 0 :: v_dual_add_nc_u32 v22, -4, v21
	s_waitcnt lgkmcnt(0)
	s_barrier
	buffer_gl0_inv
	s_and_saveexec_b32 s13, s12
	s_cbranch_execz .LBB2_35
; %bb.34:
	ds_load_b32 v23, v22
.LBB2_35:
	s_or_b32 exec_lo, exec_lo, s13
	v_cmp_gt_i32_e32 vcc_lo, 0, v18
	v_cmp_eq_u32_e64 s13, 0, v17
	v_cmp_eq_u32_e64 s14, 0, v10
	v_cndmask_b32_e64 v10, 0, v41, s2
	v_cndmask_b32_e64 v26, 0, v42, s2
	s_waitcnt lgkmcnt(0)
	v_dual_cndmask_b32 v18, v18, v17 :: v_dual_add_nc_u32 v3, v23, v3
	v_lshlrev_b32_e32 v17, 2, v19
	v_lshlrev_b32_e32 v19, 2, v33
	;; [unrolled: 1-line block ×3, first 2 shown]
	s_delay_alu instid0(VALU_DEP_4)
	v_lshlrev_b32_e32 v18, 2, v18
	v_lshlrev_b32_e32 v41, 2, v46
	;; [unrolled: 1-line block ×3, first 2 shown]
	ds_bpermute_b32 v3, v18, v3
	s_waitcnt lgkmcnt(0)
	v_cndmask_b32_e64 v3, v3, v23, s13
	s_delay_alu instid0(VALU_DEP_1) | instskip(NEXT) | instid1(VALU_DEP_1)
	v_cndmask_b32_e64 v3, v3, 0, s14
	v_add_nc_u32_e32 v4, v3, v4
	s_delay_alu instid0(VALU_DEP_1) | instskip(NEXT) | instid1(VALU_DEP_1)
	v_add_nc_u32_e32 v5, v4, v5
	v_add_nc_u32_e32 v6, v5, v6
	s_delay_alu instid0(VALU_DEP_1) | instskip(SKIP_2) | instid1(VALU_DEP_3)
	v_add_nc_u32_e32 v23, v6, v7
	v_cndmask_b32_e64 v7, 0, v40, s2
	v_cndmask_b32_e64 v40, 0, v43, s2
	v_add_nc_u32_e32 v24, v23, v0
	s_delay_alu instid0(VALU_DEP_3) | instskip(NEXT) | instid1(VALU_DEP_2)
	v_cndmask_b32_e64 v7, v7, v36, s5
	v_add_nc_u32_e32 v0, v24, v1
	s_delay_alu instid0(VALU_DEP_2) | instskip(SKIP_1) | instid1(VALU_DEP_3)
	v_cndmask_b32_e64 v7, v7, v12, s4
	v_lshlrev_b32_e32 v12, 2, v53
	v_add_nc_u32_e32 v1, v0, v2
	s_delay_alu instid0(VALU_DEP_3)
	v_cndmask_b32_e64 v7, v7, v11, s3
	v_lshlrev_b32_e32 v2, 2, v51
	v_lshlrev_b32_e32 v11, 2, v52
	ds_store_2addr_b64 v16, v[3:4], v[5:6] offset0:2 offset1:3
	ds_store_2addr_b64 v25, v[23:24], v[0:1] offset0:2 offset1:3
	s_waitcnt lgkmcnt(0)
	s_barrier
	buffer_gl0_inv
	ds_load_b32 v0, v54 offset:16
	ds_load_b32 v1, v48 offset:16
	;; [unrolled: 1-line block ×3, first 2 shown]
	v_cndmask_b32_e64 v4, v10, v37, s5
	ds_load_b32 v10, v27 offset:16
	v_cndmask_b32_e64 v5, v26, v39, s5
	v_cndmask_b32_e64 v6, v40, v34, s5
	v_and_or_b32 v7, 0xffff, v7, v29
	v_cndmask_b32_e64 v4, v4, v35, s4
	s_waitcnt lgkmcnt(0)
	v_cndmask_b32_e64 v5, v5, v38, s4
	v_cndmask_b32_e64 v6, v6, v31, s4
	s_barrier
	v_cndmask_b32_e64 v4, v4, v13, s3
	buffer_gl0_inv
	v_cndmask_b32_e64 v5, v5, v28, s3
	v_cndmask_b32_e64 v6, v6, v30, s3
	s_mov_b32 s4, 0
	v_and_or_b32 v4, 0xffff, v4, v32
	s_mov_b32 s16, s4
	v_lshlrev_b32_e32 v0, 2, v0
	v_lshlrev_b32_e32 v1, 2, v1
	;; [unrolled: 1-line block ×3, first 2 shown]
	v_and_or_b32 v5, 0xffff, v5, v45
	v_lshl_add_u32 v10, v10, 2, v19
	v_and_or_b32 v6, 0xffff, v6, v50
	v_add3_u32 v1, v2, v42, v1
	v_add3_u32 v3, v33, v41, v3
	;; [unrolled: 1-line block ×3, first 2 shown]
	ds_store_b32 v10, v7
	ds_store_b32 v3, v4
	ds_store_b32 v1, v5
	ds_store_b32 v0, v6
	s_waitcnt lgkmcnt(0)
	s_barrier
	buffer_gl0_inv
	ds_load_2addr_b32 v[10:11], v17 offset1:32
	s_mov_b32 s5, s4
	s_mov_b32 s17, s4
	s_waitcnt lgkmcnt(0)
	v_bfe_u32 v0, v10, 24, 1
	v_lshrrev_b32_e32 v5, 24, v10
	v_and_b32_e32 v1, 0xff000000, v10
	s_delay_alu instid0(VALU_DEP_3) | instskip(NEXT) | instid1(VALU_DEP_1)
	v_add_co_u32 v0, s3, v0, -1
	v_cndmask_b32_e64 v2, 0, 1, s3
	s_delay_alu instid0(VALU_DEP_4)
	v_lshlrev_b32_e32 v3, 30, v5
	v_lshlrev_b32_e32 v4, 29, v5
	;; [unrolled: 1-line block ×4, first 2 shown]
	v_cmp_ne_u32_e32 vcc_lo, 0, v2
	v_not_b32_e32 v2, v3
	v_cmp_gt_i32_e64 s3, 0, v3
	v_not_b32_e32 v3, v4
	v_lshlrev_b32_e32 v12, 26, v5
	v_xor_b32_e32 v0, vcc_lo, v0
	v_ashrrev_i32_e32 v2, 31, v2
	v_cmp_gt_i32_e32 vcc_lo, 0, v4
	v_not_b32_e32 v4, v6
	v_ashrrev_i32_e32 v3, 31, v3
	v_and_b32_e32 v0, exec_lo, v0
	v_xor_b32_e32 v2, s3, v2
	v_cmp_gt_i32_e64 s3, 0, v6
	v_not_b32_e32 v6, v7
	v_ashrrev_i32_e32 v4, 31, v4
	v_xor_b32_e32 v3, vcc_lo, v3
	v_and_b32_e32 v0, v0, v2
	v_lshlrev_b32_e32 v13, 25, v5
	v_cmp_gt_i32_e32 vcc_lo, 0, v7
	v_not_b32_e32 v2, v12
	v_ashrrev_i32_e32 v6, 31, v6
	v_xor_b32_e32 v4, s3, v4
	v_and_b32_e32 v0, v0, v3
	v_cmp_gt_i32_e64 s3, 0, v12
	v_not_b32_e32 v3, v13
	v_ashrrev_i32_e32 v2, 31, v2
	v_xor_b32_e32 v6, vcc_lo, v6
	v_and_b32_e32 v0, v0, v4
	v_not_b32_e32 v4, v1
	v_cmp_gt_i32_e32 vcc_lo, 0, v13
	v_ashrrev_i32_e32 v3, 31, v3
	v_xor_b32_e32 v2, s3, v2
	v_and_b32_e32 v0, v0, v6
	v_cmp_gt_i32_e64 s3, 0, v1
	v_ashrrev_i32_e32 v1, 31, v4
	v_xor_b32_e32 v3, vcc_lo, v3
	ds_load_2addr_b32 v[12:13], v17 offset0:64 offset1:96
	v_and_b32_e32 v0, v0, v2
	s_waitcnt lgkmcnt(0)
	v_xor_b32_e32 v4, s3, v1
	v_dual_mov_b32 v1, s4 :: v_dual_mov_b32 v2, s5
	s_delay_alu instid0(VALU_DEP_3)
	v_and_b32_e32 v0, v0, v3
	s_barrier
	buffer_gl0_inv
	v_dual_mov_b32 v3, s16 :: v_dual_and_b32 v0, v0, v4
	v_mov_b32_e32 v4, s17
	ds_store_2addr_b64 v16, v[1:2], v[3:4] offset0:2 offset1:3
	ds_store_2addr_b64 v25, v[1:2], v[3:4] offset0:2 offset1:3
	v_mbcnt_lo_u32_b32 v19, v0, 0
	v_lshlrev_b32_e32 v1, 2, v5
	v_cmp_ne_u32_e64 s3, 0, v0
	s_waitcnt lgkmcnt(0)
	s_barrier
	v_cmp_eq_u32_e32 vcc_lo, 0, v19
	v_add_lshl_u32 v23, v1, v14, 2
	buffer_gl0_inv
	; wave barrier
	s_and_b32 s4, vcc_lo, s3
	s_delay_alu instid0(SALU_CYCLE_1)
	s_and_saveexec_b32 s3, s4
	s_cbranch_execz .LBB2_37
; %bb.36:
	v_bcnt_u32_b32 v0, v0, 0
	ds_store_b32 v23, v0 offset:16
.LBB2_37:
	s_or_b32 exec_lo, exec_lo, s3
	v_bfe_u32 v0, v11, 24, 1
	v_lshrrev_b32_e32 v1, 24, v11
	; wave barrier
	s_delay_alu instid0(VALU_DEP_2) | instskip(NEXT) | instid1(VALU_DEP_1)
	v_add_co_u32 v0, s3, v0, -1
	v_cndmask_b32_e64 v2, 0, 1, s3
	s_delay_alu instid0(VALU_DEP_3)
	v_lshlrev_b32_e32 v3, 30, v1
	v_lshlrev_b32_e32 v4, 29, v1
	;; [unrolled: 1-line block ×4, first 2 shown]
	v_cmp_ne_u32_e32 vcc_lo, 0, v2
	v_not_b32_e32 v2, v3
	v_cmp_gt_i32_e64 s3, 0, v3
	v_not_b32_e32 v3, v4
	v_lshlrev_b32_e32 v7, 26, v1
	v_xor_b32_e32 v0, vcc_lo, v0
	v_ashrrev_i32_e32 v2, 31, v2
	v_cmp_gt_i32_e32 vcc_lo, 0, v4
	v_not_b32_e32 v4, v5
	v_ashrrev_i32_e32 v3, 31, v3
	v_and_b32_e32 v0, exec_lo, v0
	v_xor_b32_e32 v2, s3, v2
	v_cmp_gt_i32_e64 s3, 0, v5
	v_not_b32_e32 v5, v6
	v_ashrrev_i32_e32 v4, 31, v4
	v_xor_b32_e32 v3, vcc_lo, v3
	v_and_b32_e32 v0, v0, v2
	v_lshlrev_b32_e32 v2, 25, v1
	v_cmp_gt_i32_e32 vcc_lo, 0, v6
	v_ashrrev_i32_e32 v5, 31, v5
	v_xor_b32_e32 v4, s3, v4
	v_and_b32_e32 v0, v0, v3
	v_not_b32_e32 v6, v7
	v_and_b32_e32 v3, 0xff000000, v11
	v_not_b32_e32 v24, v2
	v_xor_b32_e32 v5, vcc_lo, v5
	v_and_b32_e32 v0, v0, v4
	v_cmp_gt_i32_e32 vcc_lo, 0, v7
	v_ashrrev_i32_e32 v4, 31, v6
	v_cmp_gt_i32_e64 s3, 0, v2
	v_ashrrev_i32_e32 v2, 31, v24
	v_and_b32_e32 v0, v0, v5
	v_not_b32_e32 v5, v3
	v_xor_b32_e32 v4, vcc_lo, v4
	v_lshlrev_b32_e32 v1, 2, v1
	v_xor_b32_e32 v2, s3, v2
	v_cmp_gt_i32_e32 vcc_lo, 0, v3
	v_ashrrev_i32_e32 v3, 31, v5
	v_and_b32_e32 v0, v0, v4
	v_add_lshl_u32 v27, v1, v14, 2
	s_delay_alu instid0(VALU_DEP_3) | instskip(NEXT) | instid1(VALU_DEP_3)
	v_xor_b32_e32 v1, vcc_lo, v3
	v_and_b32_e32 v0, v0, v2
	ds_load_b32 v24, v27 offset:16
	; wave barrier
	v_and_b32_e32 v0, v0, v1
	s_delay_alu instid0(VALU_DEP_1) | instskip(SKIP_1) | instid1(VALU_DEP_2)
	v_mbcnt_lo_u32_b32 v26, v0, 0
	v_cmp_ne_u32_e64 s3, 0, v0
	v_cmp_eq_u32_e32 vcc_lo, 0, v26
	s_delay_alu instid0(VALU_DEP_2) | instskip(NEXT) | instid1(SALU_CYCLE_1)
	s_and_b32 s4, vcc_lo, s3
	s_and_saveexec_b32 s3, s4
	s_cbranch_execz .LBB2_39
; %bb.38:
	s_waitcnt lgkmcnt(0)
	v_bcnt_u32_b32 v0, v0, v24
	ds_store_b32 v27, v0 offset:16
.LBB2_39:
	s_or_b32 exec_lo, exec_lo, s3
	v_bfe_u32 v0, v12, 24, 1
	v_lshrrev_b32_e32 v1, 24, v12
	; wave barrier
	s_delay_alu instid0(VALU_DEP_2) | instskip(NEXT) | instid1(VALU_DEP_1)
	v_add_co_u32 v0, s3, v0, -1
	v_cndmask_b32_e64 v2, 0, 1, s3
	s_delay_alu instid0(VALU_DEP_3)
	v_lshlrev_b32_e32 v3, 30, v1
	v_lshlrev_b32_e32 v4, 29, v1
	;; [unrolled: 1-line block ×4, first 2 shown]
	v_cmp_ne_u32_e32 vcc_lo, 0, v2
	v_not_b32_e32 v2, v3
	v_cmp_gt_i32_e64 s3, 0, v3
	v_not_b32_e32 v3, v4
	v_lshlrev_b32_e32 v7, 26, v1
	v_xor_b32_e32 v0, vcc_lo, v0
	v_ashrrev_i32_e32 v2, 31, v2
	v_cmp_gt_i32_e32 vcc_lo, 0, v4
	v_not_b32_e32 v4, v5
	v_ashrrev_i32_e32 v3, 31, v3
	v_and_b32_e32 v0, exec_lo, v0
	v_xor_b32_e32 v2, s3, v2
	v_cmp_gt_i32_e64 s3, 0, v5
	v_not_b32_e32 v5, v6
	v_ashrrev_i32_e32 v4, 31, v4
	v_xor_b32_e32 v3, vcc_lo, v3
	v_and_b32_e32 v0, v0, v2
	v_lshlrev_b32_e32 v2, 25, v1
	v_cmp_gt_i32_e32 vcc_lo, 0, v6
	v_ashrrev_i32_e32 v5, 31, v5
	v_xor_b32_e32 v4, s3, v4
	v_and_b32_e32 v0, v0, v3
	v_not_b32_e32 v6, v7
	v_and_b32_e32 v3, 0xff000000, v12
	v_not_b32_e32 v28, v2
	v_xor_b32_e32 v5, vcc_lo, v5
	v_and_b32_e32 v0, v0, v4
	v_cmp_gt_i32_e32 vcc_lo, 0, v7
	v_ashrrev_i32_e32 v4, 31, v6
	v_cmp_gt_i32_e64 s3, 0, v2
	v_ashrrev_i32_e32 v2, 31, v28
	v_and_b32_e32 v0, v0, v5
	v_not_b32_e32 v5, v3
	v_xor_b32_e32 v4, vcc_lo, v4
	v_lshlrev_b32_e32 v1, 2, v1
	v_xor_b32_e32 v2, s3, v2
	v_cmp_gt_i32_e32 vcc_lo, 0, v3
	v_ashrrev_i32_e32 v3, 31, v5
	v_and_b32_e32 v0, v0, v4
	v_add_lshl_u32 v30, v1, v14, 2
	s_delay_alu instid0(VALU_DEP_3) | instskip(NEXT) | instid1(VALU_DEP_3)
	v_xor_b32_e32 v1, vcc_lo, v3
	v_and_b32_e32 v0, v0, v2
	ds_load_b32 v28, v30 offset:16
	; wave barrier
	v_and_b32_e32 v0, v0, v1
	s_delay_alu instid0(VALU_DEP_1) | instskip(SKIP_1) | instid1(VALU_DEP_2)
	v_mbcnt_lo_u32_b32 v29, v0, 0
	v_cmp_ne_u32_e64 s3, 0, v0
	v_cmp_eq_u32_e32 vcc_lo, 0, v29
	s_delay_alu instid0(VALU_DEP_2) | instskip(NEXT) | instid1(SALU_CYCLE_1)
	s_and_b32 s4, vcc_lo, s3
	s_and_saveexec_b32 s3, s4
	s_cbranch_execz .LBB2_41
; %bb.40:
	s_waitcnt lgkmcnt(0)
	v_bcnt_u32_b32 v0, v0, v28
	ds_store_b32 v30, v0 offset:16
.LBB2_41:
	s_or_b32 exec_lo, exec_lo, s3
	v_bfe_u32 v0, v13, 24, 1
	v_lshrrev_b32_e32 v1, 24, v13
	; wave barrier
	s_delay_alu instid0(VALU_DEP_2) | instskip(NEXT) | instid1(VALU_DEP_1)
	v_add_co_u32 v0, s3, v0, -1
	v_cndmask_b32_e64 v2, 0, 1, s3
	s_delay_alu instid0(VALU_DEP_3)
	v_lshlrev_b32_e32 v3, 30, v1
	v_lshlrev_b32_e32 v4, 29, v1
	;; [unrolled: 1-line block ×4, first 2 shown]
	v_cmp_ne_u32_e32 vcc_lo, 0, v2
	v_not_b32_e32 v2, v3
	v_cmp_gt_i32_e64 s3, 0, v3
	v_not_b32_e32 v3, v4
	v_lshlrev_b32_e32 v7, 26, v1
	v_xor_b32_e32 v0, vcc_lo, v0
	v_ashrrev_i32_e32 v2, 31, v2
	v_cmp_gt_i32_e32 vcc_lo, 0, v4
	v_not_b32_e32 v4, v5
	v_ashrrev_i32_e32 v3, 31, v3
	v_and_b32_e32 v0, exec_lo, v0
	v_xor_b32_e32 v2, s3, v2
	v_cmp_gt_i32_e64 s3, 0, v5
	v_not_b32_e32 v5, v6
	v_ashrrev_i32_e32 v4, 31, v4
	v_xor_b32_e32 v3, vcc_lo, v3
	v_and_b32_e32 v0, v0, v2
	v_lshlrev_b32_e32 v2, 25, v1
	v_cmp_gt_i32_e32 vcc_lo, 0, v6
	v_ashrrev_i32_e32 v5, 31, v5
	v_xor_b32_e32 v4, s3, v4
	v_and_b32_e32 v0, v0, v3
	v_not_b32_e32 v6, v7
	v_and_b32_e32 v3, 0xff000000, v13
	v_not_b32_e32 v31, v2
	v_xor_b32_e32 v5, vcc_lo, v5
	v_and_b32_e32 v0, v0, v4
	v_cmp_gt_i32_e32 vcc_lo, 0, v7
	v_ashrrev_i32_e32 v4, 31, v6
	v_cmp_gt_i32_e64 s3, 0, v2
	v_ashrrev_i32_e32 v2, 31, v31
	v_and_b32_e32 v0, v0, v5
	v_not_b32_e32 v5, v3
	v_xor_b32_e32 v4, vcc_lo, v4
	v_lshlrev_b32_e32 v1, 2, v1
	v_xor_b32_e32 v2, s3, v2
	v_cmp_gt_i32_e32 vcc_lo, 0, v3
	v_ashrrev_i32_e32 v3, 31, v5
	v_and_b32_e32 v0, v0, v4
	v_add_lshl_u32 v32, v1, v14, 2
	s_delay_alu instid0(VALU_DEP_3) | instskip(NEXT) | instid1(VALU_DEP_3)
	v_xor_b32_e32 v1, vcc_lo, v3
	v_and_b32_e32 v0, v0, v2
	ds_load_b32 v31, v32 offset:16
	; wave barrier
	v_and_b32_e32 v0, v0, v1
	s_delay_alu instid0(VALU_DEP_1) | instskip(SKIP_1) | instid1(VALU_DEP_2)
	v_mbcnt_lo_u32_b32 v33, v0, 0
	v_cmp_ne_u32_e64 s3, 0, v0
	v_cmp_eq_u32_e32 vcc_lo, 0, v33
	s_delay_alu instid0(VALU_DEP_2) | instskip(NEXT) | instid1(SALU_CYCLE_1)
	s_and_b32 s4, vcc_lo, s3
	s_and_saveexec_b32 s3, s4
	s_cbranch_execz .LBB2_43
; %bb.42:
	s_waitcnt lgkmcnt(0)
	v_bcnt_u32_b32 v0, v0, v31
	ds_store_b32 v32, v0 offset:16
.LBB2_43:
	s_or_b32 exec_lo, exec_lo, s3
	; wave barrier
	s_waitcnt lgkmcnt(0)
	s_barrier
	buffer_gl0_inv
	ds_load_2addr_b64 v[4:7], v16 offset0:2 offset1:3
	ds_load_2addr_b64 v[0:3], v25 offset0:2 offset1:3
	s_waitcnt lgkmcnt(1)
	v_add_nc_u32_e32 v34, v5, v4
	s_delay_alu instid0(VALU_DEP_1) | instskip(SKIP_1) | instid1(VALU_DEP_1)
	v_add3_u32 v34, v34, v6, v7
	s_waitcnt lgkmcnt(0)
	v_add3_u32 v34, v34, v0, v1
	s_delay_alu instid0(VALU_DEP_1) | instskip(NEXT) | instid1(VALU_DEP_1)
	v_add3_u32 v3, v34, v2, v3
	v_mov_b32_dpp v34, v3 row_shr:1 row_mask:0xf bank_mask:0xf
	s_delay_alu instid0(VALU_DEP_1) | instskip(NEXT) | instid1(VALU_DEP_1)
	v_cndmask_b32_e64 v34, v34, 0, s0
	v_add_nc_u32_e32 v3, v34, v3
	s_delay_alu instid0(VALU_DEP_1) | instskip(NEXT) | instid1(VALU_DEP_1)
	v_mov_b32_dpp v34, v3 row_shr:2 row_mask:0xf bank_mask:0xf
	v_cndmask_b32_e64 v34, 0, v34, s1
	s_delay_alu instid0(VALU_DEP_1) | instskip(NEXT) | instid1(VALU_DEP_1)
	v_add_nc_u32_e32 v3, v3, v34
	v_mov_b32_dpp v34, v3 row_shr:4 row_mask:0xf bank_mask:0xf
	s_delay_alu instid0(VALU_DEP_1) | instskip(NEXT) | instid1(VALU_DEP_1)
	v_cndmask_b32_e64 v34, 0, v34, s6
	v_add_nc_u32_e32 v3, v3, v34
	s_delay_alu instid0(VALU_DEP_1) | instskip(NEXT) | instid1(VALU_DEP_1)
	v_mov_b32_dpp v34, v3 row_shr:8 row_mask:0xf bank_mask:0xf
	v_cndmask_b32_e64 v34, 0, v34, s7
	s_delay_alu instid0(VALU_DEP_1) | instskip(SKIP_3) | instid1(VALU_DEP_1)
	v_add_nc_u32_e32 v3, v3, v34
	ds_swizzle_b32 v34, v3 offset:swizzle(BROADCAST,32,15)
	s_waitcnt lgkmcnt(0)
	v_cndmask_b32_e64 v34, v34, 0, s8
	v_add_nc_u32_e32 v37, v3, v34
	s_and_saveexec_b32 s3, s9
	s_cbranch_execz .LBB2_45
; %bb.44:
	ds_store_b32 v21, v37
.LBB2_45:
	s_or_b32 exec_lo, exec_lo, s3
	s_waitcnt lgkmcnt(0)
	s_barrier
	buffer_gl0_inv
	s_and_saveexec_b32 s3, s10
	s_cbranch_execz .LBB2_47
; %bb.46:
	ds_load_b32 v3, v20
	s_waitcnt lgkmcnt(0)
	v_mov_b32_dpp v34, v3 row_shr:1 row_mask:0xf bank_mask:0xf
	s_delay_alu instid0(VALU_DEP_1) | instskip(NEXT) | instid1(VALU_DEP_1)
	v_cndmask_b32_e64 v34, v34, 0, s2
	v_add_nc_u32_e32 v3, v34, v3
	s_delay_alu instid0(VALU_DEP_1) | instskip(NEXT) | instid1(VALU_DEP_1)
	v_mov_b32_dpp v34, v3 row_shr:2 row_mask:0xf bank_mask:0xf
	v_cndmask_b32_e64 v34, 0, v34, s11
	s_delay_alu instid0(VALU_DEP_1)
	v_add_nc_u32_e32 v3, v3, v34
	ds_store_b32 v20, v3
.LBB2_47:
	s_or_b32 exec_lo, exec_lo, s3
	v_lshrrev_b32_e32 v3, 16, v10
	v_lshrrev_b32_e32 v34, 16, v11
	;; [unrolled: 1-line block ×4, first 2 shown]
	v_mov_b32_e32 v38, 0
	s_waitcnt lgkmcnt(0)
	s_barrier
	buffer_gl0_inv
	s_and_saveexec_b32 s3, s12
	s_cbranch_execz .LBB2_49
; %bb.48:
	ds_load_b32 v38, v22
.LBB2_49:
	s_or_b32 exec_lo, exec_lo, s3
	s_mov_b32 s4, 0
	v_lshlrev_b32_e32 v19, 2, v19
	s_mov_b32 s5, s4
	s_waitcnt lgkmcnt(0)
	v_add_nc_u32_e32 v37, v38, v37
	s_mov_b32 s16, s4
	s_mov_b32 s17, s4
	v_lshlrev_b32_e32 v24, 2, v24
	v_perm_b32 v3, v10, v3, 0x1000504
	ds_bpermute_b32 v37, v18, v37
	v_lshlrev_b32_e32 v10, 2, v33
	s_waitcnt lgkmcnt(0)
	v_cndmask_b32_e64 v37, v37, v38, s13
	s_delay_alu instid0(VALU_DEP_1) | instskip(NEXT) | instid1(VALU_DEP_1)
	v_cndmask_b32_e64 v37, v37, 0, s14
	v_add_nc_u32_e32 v38, v37, v4
	s_delay_alu instid0(VALU_DEP_1) | instskip(NEXT) | instid1(VALU_DEP_1)
	v_add_nc_u32_e32 v4, v38, v5
	v_add_nc_u32_e32 v5, v4, v6
	s_delay_alu instid0(VALU_DEP_1) | instskip(NEXT) | instid1(VALU_DEP_1)
	v_add_nc_u32_e32 v6, v5, v7
	;; [unrolled: 3-line block ×3, first 2 shown]
	v_add_nc_u32_e32 v1, v0, v2
	ds_store_2addr_b64 v16, v[37:38], v[4:5] offset0:2 offset1:3
	ds_store_2addr_b64 v25, v[6:7], v[0:1] offset0:2 offset1:3
	s_waitcnt lgkmcnt(0)
	s_barrier
	buffer_gl0_inv
	ds_load_b32 v0, v27 offset:16
	ds_load_b32 v1, v30 offset:16
	;; [unrolled: 1-line block ×4, first 2 shown]
	v_lshlrev_b32_e32 v23, 2, v26
	v_perm_b32 v6, v12, v35, 0x1000504
	v_perm_b32 v7, v13, v36, 0x1000504
	v_lshlrev_b32_e32 v12, 2, v29
	v_lshlrev_b32_e32 v13, 2, v28
	v_perm_b32 v5, v11, v34, 0x1000504
	v_lshlrev_b32_e32 v11, 2, v31
	s_waitcnt lgkmcnt(0)
	s_barrier
	buffer_gl0_inv
	v_lshlrev_b32_e32 v0, 2, v0
	v_lshlrev_b32_e32 v1, 2, v1
	v_lshlrev_b32_e32 v2, 2, v2
	v_lshl_add_u32 v4, v4, 2, v19
	s_delay_alu instid0(VALU_DEP_4) | instskip(NEXT) | instid1(VALU_DEP_4)
	v_add3_u32 v0, v23, v24, v0
	v_add3_u32 v1, v12, v13, v1
	v_mov_b32_e32 v12, s16
	v_add3_u32 v2, v10, v11, v2
	ds_store_b32 v4, v3
	ds_store_b32 v0, v5
	;; [unrolled: 1-line block ×4, first 2 shown]
	s_waitcnt lgkmcnt(0)
	s_barrier
	buffer_gl0_inv
	ds_load_2addr_b32 v[0:1], v17 offset1:32
	ds_load_2addr_b32 v[2:3], v17 offset0:64 offset1:96
	v_dual_mov_b32 v11, s5 :: v_dual_mov_b32 v10, s4
	v_mov_b32_e32 v13, s17
	s_waitcnt lgkmcnt(0)
	s_barrier
	s_branch .LBB2_51
.LBB2_50:                               ;   in Loop: Header=BB2_51 Depth=1
	s_barrier
	buffer_gl0_inv
	ds_store_b32 v4, v19
	ds_store_b32 v5, v23
	;; [unrolled: 1-line block ×4, first 2 shown]
	s_waitcnt lgkmcnt(0)
	s_barrier
	buffer_gl0_inv
	ds_load_2addr_b32 v[0:1], v17 offset1:32
	ds_load_2addr_b32 v[2:3], v17 offset0:64 offset1:96
	s_add_i32 s4, s4, 8
	s_waitcnt lgkmcnt(0)
	s_barrier
	s_cbranch_execz .LBB2_67
.LBB2_51:                               ; =>This Inner Loop Header: Depth=1
	v_mov_b32_e32 v19, v0
	buffer_gl0_inv
	ds_store_2addr_b64 v16, v[10:11], v[12:13] offset0:2 offset1:3
	ds_store_2addr_b64 v25, v[10:11], v[12:13] offset0:2 offset1:3
	s_waitcnt lgkmcnt(0)
	s_barrier
	v_and_b32_e32 v0, 0xffff, v19
	buffer_gl0_inv
	; wave barrier
	v_bfe_u32 v4, v0, s4, 1
	v_lshrrev_b32_e32 v0, s4, v0
	s_delay_alu instid0(VALU_DEP_2) | instskip(NEXT) | instid1(VALU_DEP_1)
	v_add_co_u32 v4, s3, v4, -1
	v_cndmask_b32_e64 v5, 0, 1, s3
	s_delay_alu instid0(VALU_DEP_3)
	v_lshlrev_b32_e32 v6, 30, v0
	v_lshlrev_b32_e32 v7, 29, v0
	;; [unrolled: 1-line block ×4, first 2 shown]
	v_cmp_ne_u32_e32 vcc_lo, 0, v5
	v_not_b32_e32 v5, v6
	v_cmp_gt_i32_e64 s3, 0, v6
	v_not_b32_e32 v6, v7
	v_lshlrev_b32_e32 v26, 26, v0
	v_xor_b32_e32 v4, vcc_lo, v4
	v_ashrrev_i32_e32 v5, 31, v5
	v_cmp_gt_i32_e32 vcc_lo, 0, v7
	v_not_b32_e32 v7, v23
	v_ashrrev_i32_e32 v6, 31, v6
	v_and_b32_e32 v4, exec_lo, v4
	v_xor_b32_e32 v5, s3, v5
	v_cmp_gt_i32_e64 s3, 0, v23
	v_not_b32_e32 v23, v24
	v_ashrrev_i32_e32 v7, 31, v7
	v_xor_b32_e32 v6, vcc_lo, v6
	v_and_b32_e32 v4, v4, v5
	v_lshlrev_b32_e32 v27, 25, v0
	v_cmp_gt_i32_e32 vcc_lo, 0, v24
	v_mov_b32_e32 v24, v3
	v_not_b32_e32 v5, v26
	v_ashrrev_i32_e32 v23, 31, v23
	v_xor_b32_e32 v7, s3, v7
	v_and_b32_e32 v4, v4, v6
	v_lshlrev_b32_e32 v28, 24, v0
	v_cmp_gt_i32_e64 s3, 0, v26
	v_not_b32_e32 v6, v27
	v_ashrrev_i32_e32 v5, 31, v5
	v_xor_b32_e32 v23, vcc_lo, v23
	v_and_b32_e32 v4, v4, v7
	v_cmp_gt_i32_e32 vcc_lo, 0, v27
	v_not_b32_e32 v7, v28
	v_ashrrev_i32_e32 v6, 31, v6
	v_xor_b32_e32 v5, s3, v5
	v_and_b32_e32 v4, v4, v23
	v_cmp_gt_i32_e64 s3, 0, v28
	v_ashrrev_i32_e32 v7, 31, v7
	v_xor_b32_e32 v6, vcc_lo, v6
	s_delay_alu instid0(VALU_DEP_4) | instskip(SKIP_1) | instid1(VALU_DEP_4)
	v_dual_mov_b32 v23, v1 :: v_dual_and_b32 v4, v4, v5
	v_mov_b32_e32 v26, v2
	v_xor_b32_e32 v5, s3, v7
	s_delay_alu instid0(VALU_DEP_3) | instskip(SKIP_1) | instid1(VALU_DEP_2)
	v_and_b32_e32 v4, v4, v6
	v_lshlrev_b32_e32 v6, 2, v0
	v_and_b32_e32 v0, v4, v5
	s_delay_alu instid0(VALU_DEP_2) | instskip(NEXT) | instid1(VALU_DEP_2)
	v_and_b32_e32 v1, 0x3fc, v6
	v_mbcnt_lo_u32_b32 v27, v0, 0
	s_delay_alu instid0(VALU_DEP_2) | instskip(SKIP_1) | instid1(VALU_DEP_3)
	v_add_nc_u32_e32 v1, v1, v14
	v_cmp_ne_u32_e64 s3, 0, v0
	v_cmp_eq_u32_e32 vcc_lo, 0, v27
	s_delay_alu instid0(VALU_DEP_3) | instskip(NEXT) | instid1(VALU_DEP_3)
	v_lshl_add_u32 v28, v1, 2, 16
	s_and_b32 s5, vcc_lo, s3
	s_delay_alu instid0(SALU_CYCLE_1)
	s_and_saveexec_b32 s3, s5
	s_cbranch_execz .LBB2_53
; %bb.52:                               ;   in Loop: Header=BB2_51 Depth=1
	v_bcnt_u32_b32 v0, v0, 0
	ds_store_b32 v28, v0
.LBB2_53:                               ;   in Loop: Header=BB2_51 Depth=1
	s_or_b32 exec_lo, exec_lo, s3
	v_and_b32_e32 v0, 0xffff, v23
	; wave barrier
	s_delay_alu instid0(VALU_DEP_1) | instskip(SKIP_1) | instid1(VALU_DEP_2)
	v_lshrrev_b32_e32 v1, s4, v0
	v_bfe_u32 v0, v0, s4, 1
	v_lshlrev_b32_e32 v4, 30, v1
	s_delay_alu instid0(VALU_DEP_2) | instskip(NEXT) | instid1(VALU_DEP_1)
	v_add_co_u32 v0, s3, v0, -1
	v_cndmask_b32_e64 v3, 0, 1, s3
	v_lshlrev_b32_e32 v5, 29, v1
	v_lshlrev_b32_e32 v6, 28, v1
	v_cmp_gt_i32_e64 s3, 0, v4
	v_lshlrev_b32_e32 v7, 27, v1
	v_cmp_ne_u32_e32 vcc_lo, 0, v3
	v_not_b32_e32 v3, v4
	v_not_b32_e32 v4, v5
	v_lshlrev_b32_e32 v29, 26, v1
	v_lshlrev_b32_e32 v30, 25, v1
	v_xor_b32_e32 v0, vcc_lo, v0
	v_ashrrev_i32_e32 v3, 31, v3
	v_cmp_gt_i32_e32 vcc_lo, 0, v5
	v_not_b32_e32 v5, v6
	v_ashrrev_i32_e32 v4, 31, v4
	v_and_b32_e32 v0, exec_lo, v0
	v_xor_b32_e32 v3, s3, v3
	v_cmp_gt_i32_e64 s3, 0, v6
	v_not_b32_e32 v6, v7
	v_ashrrev_i32_e32 v5, 31, v5
	v_xor_b32_e32 v4, vcc_lo, v4
	v_and_b32_e32 v0, v0, v3
	v_cmp_gt_i32_e32 vcc_lo, 0, v7
	v_not_b32_e32 v3, v29
	v_ashrrev_i32_e32 v6, 31, v6
	v_xor_b32_e32 v5, s3, v5
	v_and_b32_e32 v0, v0, v4
	v_lshlrev_b32_e32 v2, 2, v1
	v_lshlrev_b32_e32 v1, 24, v1
	v_cmp_gt_i32_e64 s3, 0, v29
	v_not_b32_e32 v4, v30
	v_ashrrev_i32_e32 v3, 31, v3
	v_xor_b32_e32 v6, vcc_lo, v6
	v_and_b32_e32 v0, v0, v5
	v_cmp_gt_i32_e32 vcc_lo, 0, v30
	v_not_b32_e32 v5, v1
	v_ashrrev_i32_e32 v4, 31, v4
	v_xor_b32_e32 v3, s3, v3
	v_and_b32_e32 v0, v0, v6
	v_and_b32_e32 v2, 0x3fc, v2
	v_cmp_gt_i32_e64 s3, 0, v1
	v_ashrrev_i32_e32 v1, 31, v5
	v_xor_b32_e32 v4, vcc_lo, v4
	v_and_b32_e32 v0, v0, v3
	v_add_lshl_u32 v2, v2, v14, 2
	s_delay_alu instid0(VALU_DEP_4) | instskip(NEXT) | instid1(VALU_DEP_3)
	v_xor_b32_e32 v1, s3, v1
	v_and_b32_e32 v0, v0, v4
	ds_load_b32 v29, v2 offset:16
	v_add_nc_u32_e32 v31, 16, v2
	; wave barrier
	v_and_b32_e32 v0, v0, v1
	s_delay_alu instid0(VALU_DEP_1) | instskip(SKIP_1) | instid1(VALU_DEP_2)
	v_mbcnt_lo_u32_b32 v30, v0, 0
	v_cmp_ne_u32_e64 s3, 0, v0
	v_cmp_eq_u32_e32 vcc_lo, 0, v30
	s_delay_alu instid0(VALU_DEP_2) | instskip(NEXT) | instid1(SALU_CYCLE_1)
	s_and_b32 s5, vcc_lo, s3
	s_and_saveexec_b32 s3, s5
	s_cbranch_execz .LBB2_55
; %bb.54:                               ;   in Loop: Header=BB2_51 Depth=1
	s_waitcnt lgkmcnt(0)
	v_bcnt_u32_b32 v0, v0, v29
	ds_store_b32 v31, v0
.LBB2_55:                               ;   in Loop: Header=BB2_51 Depth=1
	s_or_b32 exec_lo, exec_lo, s3
	v_and_b32_e32 v0, 0xffff, v26
	; wave barrier
	s_delay_alu instid0(VALU_DEP_1) | instskip(SKIP_1) | instid1(VALU_DEP_2)
	v_lshrrev_b32_e32 v1, s4, v0
	v_bfe_u32 v0, v0, s4, 1
	v_lshlrev_b32_e32 v4, 30, v1
	s_delay_alu instid0(VALU_DEP_2) | instskip(NEXT) | instid1(VALU_DEP_1)
	v_add_co_u32 v0, s3, v0, -1
	v_cndmask_b32_e64 v3, 0, 1, s3
	v_lshlrev_b32_e32 v5, 29, v1
	v_lshlrev_b32_e32 v6, 28, v1
	v_cmp_gt_i32_e64 s3, 0, v4
	v_lshlrev_b32_e32 v7, 27, v1
	v_cmp_ne_u32_e32 vcc_lo, 0, v3
	v_not_b32_e32 v3, v4
	v_not_b32_e32 v4, v5
	v_lshlrev_b32_e32 v32, 26, v1
	v_lshlrev_b32_e32 v33, 25, v1
	v_xor_b32_e32 v0, vcc_lo, v0
	v_ashrrev_i32_e32 v3, 31, v3
	v_cmp_gt_i32_e32 vcc_lo, 0, v5
	v_not_b32_e32 v5, v6
	v_ashrrev_i32_e32 v4, 31, v4
	v_and_b32_e32 v0, exec_lo, v0
	v_xor_b32_e32 v3, s3, v3
	v_cmp_gt_i32_e64 s3, 0, v6
	v_not_b32_e32 v6, v7
	v_ashrrev_i32_e32 v5, 31, v5
	v_xor_b32_e32 v4, vcc_lo, v4
	v_and_b32_e32 v0, v0, v3
	v_cmp_gt_i32_e32 vcc_lo, 0, v7
	v_not_b32_e32 v3, v32
	v_ashrrev_i32_e32 v6, 31, v6
	v_xor_b32_e32 v5, s3, v5
	v_and_b32_e32 v0, v0, v4
	v_lshlrev_b32_e32 v2, 2, v1
	v_lshlrev_b32_e32 v1, 24, v1
	v_cmp_gt_i32_e64 s3, 0, v32
	v_not_b32_e32 v4, v33
	v_ashrrev_i32_e32 v3, 31, v3
	v_xor_b32_e32 v6, vcc_lo, v6
	v_and_b32_e32 v0, v0, v5
	v_cmp_gt_i32_e32 vcc_lo, 0, v33
	v_not_b32_e32 v5, v1
	v_ashrrev_i32_e32 v4, 31, v4
	v_xor_b32_e32 v3, s3, v3
	v_and_b32_e32 v0, v0, v6
	v_and_b32_e32 v2, 0x3fc, v2
	v_cmp_gt_i32_e64 s3, 0, v1
	v_ashrrev_i32_e32 v1, 31, v5
	v_xor_b32_e32 v4, vcc_lo, v4
	v_and_b32_e32 v0, v0, v3
	v_add_lshl_u32 v2, v2, v14, 2
	s_delay_alu instid0(VALU_DEP_4) | instskip(NEXT) | instid1(VALU_DEP_3)
	v_xor_b32_e32 v1, s3, v1
	v_and_b32_e32 v0, v0, v4
	ds_load_b32 v32, v2 offset:16
	v_add_nc_u32_e32 v34, 16, v2
	; wave barrier
	v_and_b32_e32 v0, v0, v1
	s_delay_alu instid0(VALU_DEP_1) | instskip(SKIP_1) | instid1(VALU_DEP_2)
	v_mbcnt_lo_u32_b32 v33, v0, 0
	v_cmp_ne_u32_e64 s3, 0, v0
	v_cmp_eq_u32_e32 vcc_lo, 0, v33
	s_delay_alu instid0(VALU_DEP_2) | instskip(NEXT) | instid1(SALU_CYCLE_1)
	s_and_b32 s5, vcc_lo, s3
	s_and_saveexec_b32 s3, s5
	s_cbranch_execz .LBB2_57
; %bb.56:                               ;   in Loop: Header=BB2_51 Depth=1
	s_waitcnt lgkmcnt(0)
	v_bcnt_u32_b32 v0, v0, v32
	ds_store_b32 v34, v0
.LBB2_57:                               ;   in Loop: Header=BB2_51 Depth=1
	s_or_b32 exec_lo, exec_lo, s3
	v_and_b32_e32 v0, 0xffff, v24
	; wave barrier
	s_delay_alu instid0(VALU_DEP_1) | instskip(SKIP_1) | instid1(VALU_DEP_2)
	v_lshrrev_b32_e32 v1, s4, v0
	v_bfe_u32 v0, v0, s4, 1
	v_lshlrev_b32_e32 v4, 30, v1
	s_delay_alu instid0(VALU_DEP_2) | instskip(NEXT) | instid1(VALU_DEP_1)
	v_add_co_u32 v0, s3, v0, -1
	v_cndmask_b32_e64 v3, 0, 1, s3
	v_lshlrev_b32_e32 v5, 29, v1
	v_lshlrev_b32_e32 v6, 28, v1
	v_cmp_gt_i32_e64 s3, 0, v4
	v_lshlrev_b32_e32 v7, 27, v1
	v_cmp_ne_u32_e32 vcc_lo, 0, v3
	v_not_b32_e32 v3, v4
	v_not_b32_e32 v4, v5
	v_lshlrev_b32_e32 v35, 26, v1
	v_lshlrev_b32_e32 v36, 25, v1
	v_xor_b32_e32 v0, vcc_lo, v0
	v_ashrrev_i32_e32 v3, 31, v3
	v_cmp_gt_i32_e32 vcc_lo, 0, v5
	v_not_b32_e32 v5, v6
	v_ashrrev_i32_e32 v4, 31, v4
	v_and_b32_e32 v0, exec_lo, v0
	v_xor_b32_e32 v3, s3, v3
	v_cmp_gt_i32_e64 s3, 0, v6
	v_not_b32_e32 v6, v7
	v_ashrrev_i32_e32 v5, 31, v5
	v_xor_b32_e32 v4, vcc_lo, v4
	v_and_b32_e32 v0, v0, v3
	v_cmp_gt_i32_e32 vcc_lo, 0, v7
	v_not_b32_e32 v3, v35
	v_ashrrev_i32_e32 v6, 31, v6
	v_xor_b32_e32 v5, s3, v5
	v_and_b32_e32 v0, v0, v4
	v_lshlrev_b32_e32 v2, 2, v1
	v_lshlrev_b32_e32 v1, 24, v1
	v_cmp_gt_i32_e64 s3, 0, v35
	v_not_b32_e32 v4, v36
	v_ashrrev_i32_e32 v3, 31, v3
	v_xor_b32_e32 v6, vcc_lo, v6
	v_and_b32_e32 v0, v0, v5
	v_cmp_gt_i32_e32 vcc_lo, 0, v36
	v_not_b32_e32 v5, v1
	v_ashrrev_i32_e32 v4, 31, v4
	v_xor_b32_e32 v3, s3, v3
	v_and_b32_e32 v0, v0, v6
	v_and_b32_e32 v2, 0x3fc, v2
	v_cmp_gt_i32_e64 s3, 0, v1
	v_ashrrev_i32_e32 v1, 31, v5
	v_xor_b32_e32 v4, vcc_lo, v4
	v_and_b32_e32 v0, v0, v3
	v_add_lshl_u32 v2, v2, v14, 2
	s_delay_alu instid0(VALU_DEP_4) | instskip(NEXT) | instid1(VALU_DEP_3)
	v_xor_b32_e32 v1, s3, v1
	v_and_b32_e32 v0, v0, v4
	ds_load_b32 v35, v2 offset:16
	v_add_nc_u32_e32 v37, 16, v2
	; wave barrier
	v_and_b32_e32 v0, v0, v1
	s_delay_alu instid0(VALU_DEP_1) | instskip(SKIP_1) | instid1(VALU_DEP_2)
	v_mbcnt_lo_u32_b32 v36, v0, 0
	v_cmp_ne_u32_e64 s3, 0, v0
	v_cmp_eq_u32_e32 vcc_lo, 0, v36
	s_delay_alu instid0(VALU_DEP_2) | instskip(NEXT) | instid1(SALU_CYCLE_1)
	s_and_b32 s5, vcc_lo, s3
	s_and_saveexec_b32 s3, s5
	s_cbranch_execz .LBB2_59
; %bb.58:                               ;   in Loop: Header=BB2_51 Depth=1
	s_waitcnt lgkmcnt(0)
	v_bcnt_u32_b32 v0, v0, v35
	ds_store_b32 v37, v0
.LBB2_59:                               ;   in Loop: Header=BB2_51 Depth=1
	s_or_b32 exec_lo, exec_lo, s3
	; wave barrier
	s_waitcnt lgkmcnt(0)
	s_barrier
	buffer_gl0_inv
	ds_load_2addr_b64 v[4:7], v16 offset0:2 offset1:3
	ds_load_2addr_b64 v[0:3], v25 offset0:2 offset1:3
	s_waitcnt lgkmcnt(1)
	v_add_nc_u32_e32 v38, v5, v4
	s_delay_alu instid0(VALU_DEP_1) | instskip(SKIP_1) | instid1(VALU_DEP_1)
	v_add3_u32 v38, v38, v6, v7
	s_waitcnt lgkmcnt(0)
	v_add3_u32 v38, v38, v0, v1
	s_delay_alu instid0(VALU_DEP_1) | instskip(NEXT) | instid1(VALU_DEP_1)
	v_add3_u32 v3, v38, v2, v3
	v_mov_b32_dpp v38, v3 row_shr:1 row_mask:0xf bank_mask:0xf
	s_delay_alu instid0(VALU_DEP_1) | instskip(NEXT) | instid1(VALU_DEP_1)
	v_cndmask_b32_e64 v38, v38, 0, s0
	v_add_nc_u32_e32 v3, v38, v3
	s_delay_alu instid0(VALU_DEP_1) | instskip(NEXT) | instid1(VALU_DEP_1)
	v_mov_b32_dpp v38, v3 row_shr:2 row_mask:0xf bank_mask:0xf
	v_cndmask_b32_e64 v38, 0, v38, s1
	s_delay_alu instid0(VALU_DEP_1) | instskip(NEXT) | instid1(VALU_DEP_1)
	v_add_nc_u32_e32 v3, v3, v38
	v_mov_b32_dpp v38, v3 row_shr:4 row_mask:0xf bank_mask:0xf
	s_delay_alu instid0(VALU_DEP_1) | instskip(NEXT) | instid1(VALU_DEP_1)
	v_cndmask_b32_e64 v38, 0, v38, s6
	v_add_nc_u32_e32 v3, v3, v38
	s_delay_alu instid0(VALU_DEP_1) | instskip(NEXT) | instid1(VALU_DEP_1)
	v_mov_b32_dpp v38, v3 row_shr:8 row_mask:0xf bank_mask:0xf
	v_cndmask_b32_e64 v38, 0, v38, s7
	s_delay_alu instid0(VALU_DEP_1) | instskip(SKIP_3) | instid1(VALU_DEP_1)
	v_add_nc_u32_e32 v3, v3, v38
	ds_swizzle_b32 v38, v3 offset:swizzle(BROADCAST,32,15)
	s_waitcnt lgkmcnt(0)
	v_cndmask_b32_e64 v38, v38, 0, s8
	v_add_nc_u32_e32 v3, v3, v38
	s_and_saveexec_b32 s3, s9
	s_cbranch_execz .LBB2_61
; %bb.60:                               ;   in Loop: Header=BB2_51 Depth=1
	ds_store_b32 v21, v3
.LBB2_61:                               ;   in Loop: Header=BB2_51 Depth=1
	s_or_b32 exec_lo, exec_lo, s3
	s_waitcnt lgkmcnt(0)
	s_barrier
	buffer_gl0_inv
	s_and_saveexec_b32 s3, s10
	s_cbranch_execz .LBB2_63
; %bb.62:                               ;   in Loop: Header=BB2_51 Depth=1
	ds_load_b32 v38, v20
	s_waitcnt lgkmcnt(0)
	v_mov_b32_dpp v39, v38 row_shr:1 row_mask:0xf bank_mask:0xf
	s_delay_alu instid0(VALU_DEP_1) | instskip(NEXT) | instid1(VALU_DEP_1)
	v_cndmask_b32_e64 v39, v39, 0, s2
	v_add_nc_u32_e32 v38, v39, v38
	s_delay_alu instid0(VALU_DEP_1) | instskip(NEXT) | instid1(VALU_DEP_1)
	v_mov_b32_dpp v39, v38 row_shr:2 row_mask:0xf bank_mask:0xf
	v_cndmask_b32_e64 v39, 0, v39, s11
	s_delay_alu instid0(VALU_DEP_1)
	v_add_nc_u32_e32 v38, v38, v39
	ds_store_b32 v20, v38
.LBB2_63:                               ;   in Loop: Header=BB2_51 Depth=1
	s_or_b32 exec_lo, exec_lo, s3
	v_mov_b32_e32 v38, 0
	s_waitcnt lgkmcnt(0)
	s_barrier
	buffer_gl0_inv
	s_and_saveexec_b32 s3, s12
	s_cbranch_execz .LBB2_65
; %bb.64:                               ;   in Loop: Header=BB2_51 Depth=1
	ds_load_b32 v38, v22
.LBB2_65:                               ;   in Loop: Header=BB2_51 Depth=1
	s_or_b32 exec_lo, exec_lo, s3
	s_waitcnt lgkmcnt(0)
	v_add_nc_u32_e32 v3, v38, v3
	s_add_i32 s3, s4, 16
	s_delay_alu instid0(SALU_CYCLE_1) | instskip(SKIP_3) | instid1(VALU_DEP_1)
	s_cmp_gt_u32 s3, 23
	ds_bpermute_b32 v3, v18, v3
	s_waitcnt lgkmcnt(0)
	v_cndmask_b32_e64 v3, v3, v38, s13
	v_cndmask_b32_e64 v3, v3, 0, s14
	s_delay_alu instid0(VALU_DEP_1) | instskip(NEXT) | instid1(VALU_DEP_1)
	v_add_nc_u32_e32 v4, v3, v4
	v_add_nc_u32_e32 v5, v4, v5
	s_delay_alu instid0(VALU_DEP_1) | instskip(NEXT) | instid1(VALU_DEP_1)
	v_add_nc_u32_e32 v6, v5, v6
	v_add_nc_u32_e32 v38, v6, v7
	v_lshlrev_b32_e32 v7, 2, v33
	s_delay_alu instid0(VALU_DEP_2) | instskip(NEXT) | instid1(VALU_DEP_1)
	v_add_nc_u32_e32 v39, v38, v0
	v_add_nc_u32_e32 v0, v39, v1
	s_delay_alu instid0(VALU_DEP_1)
	v_add_nc_u32_e32 v1, v0, v2
	ds_store_2addr_b64 v16, v[3:4], v[5:6] offset0:2 offset1:3
	ds_store_2addr_b64 v25, v[38:39], v[0:1] offset0:2 offset1:3
	s_waitcnt lgkmcnt(0)
	s_barrier
	buffer_gl0_inv
	ds_load_b32 v0, v31
	ds_load_b32 v1, v34
	;; [unrolled: 1-line block ×4, first 2 shown]
	v_lshlrev_b32_e32 v4, 2, v27
	v_lshlrev_b32_e32 v5, 2, v30
	;; [unrolled: 1-line block ×6, first 2 shown]
	s_waitcnt lgkmcnt(0)
	v_lshlrev_b32_e32 v0, 2, v0
	v_lshlrev_b32_e32 v1, 2, v1
	;; [unrolled: 1-line block ×3, first 2 shown]
	v_lshl_add_u32 v4, v3, 2, v4
	s_delay_alu instid0(VALU_DEP_4) | instskip(NEXT) | instid1(VALU_DEP_4)
	v_add3_u32 v5, v5, v6, v0
	v_add3_u32 v6, v7, v27, v1
	s_delay_alu instid0(VALU_DEP_4)
	v_add3_u32 v7, v28, v29, v2
	s_cbranch_scc0 .LBB2_50
; %bb.66:
                                        ; implicit-def: $vgpr0
                                        ; implicit-def: $vgpr2
                                        ; implicit-def: $sgpr4
.LBB2_67:
	s_barrier
	buffer_gl0_inv
	ds_store_b32 v4, v19
	ds_store_b32 v5, v23
	;; [unrolled: 1-line block ×4, first 2 shown]
	s_waitcnt lgkmcnt(0)
	s_barrier
.LBB2_68:
	v_lshlrev_b32_e32 v0, 2, v15
	buffer_gl0_inv
	ds_load_2addr_b64 v[0:3], v0 offset1:1
	s_waitcnt lgkmcnt(0)
	v_xor_b32_e32 v0, 0x80008000, v0
	v_xor_b32_e32 v1, 0x80008000, v1
	;; [unrolled: 1-line block ×4, first 2 shown]
	global_store_b128 v[8:9], v[0:3], off
	s_nop 0
	s_sendmsg sendmsg(MSG_DEALLOC_VGPRS)
	s_endpgm
	.section	.rodata,"a",@progbits
	.p2align	6, 0x0
	.amdhsa_kernel _Z15sort_key_kernelILj128ELj4ELb0ELb0EN10test_utils16custom_test_typeIsEEEvPT3_jj
		.amdhsa_group_segment_fixed_size 4112
		.amdhsa_private_segment_fixed_size 0
		.amdhsa_kernarg_size 272
		.amdhsa_user_sgpr_count 15
		.amdhsa_user_sgpr_dispatch_ptr 0
		.amdhsa_user_sgpr_queue_ptr 0
		.amdhsa_user_sgpr_kernarg_segment_ptr 1
		.amdhsa_user_sgpr_dispatch_id 0
		.amdhsa_user_sgpr_private_segment_size 0
		.amdhsa_wavefront_size32 1
		.amdhsa_uses_dynamic_stack 0
		.amdhsa_enable_private_segment 0
		.amdhsa_system_sgpr_workgroup_id_x 1
		.amdhsa_system_sgpr_workgroup_id_y 0
		.amdhsa_system_sgpr_workgroup_id_z 0
		.amdhsa_system_sgpr_workgroup_info 0
		.amdhsa_system_vgpr_workitem_id 2
		.amdhsa_next_free_vgpr 59
		.amdhsa_next_free_sgpr 32
		.amdhsa_reserve_vcc 1
		.amdhsa_float_round_mode_32 0
		.amdhsa_float_round_mode_16_64 0
		.amdhsa_float_denorm_mode_32 3
		.amdhsa_float_denorm_mode_16_64 3
		.amdhsa_dx10_clamp 1
		.amdhsa_ieee_mode 1
		.amdhsa_fp16_overflow 0
		.amdhsa_workgroup_processor_mode 1
		.amdhsa_memory_ordered 1
		.amdhsa_forward_progress 0
		.amdhsa_shared_vgpr_count 0
		.amdhsa_exception_fp_ieee_invalid_op 0
		.amdhsa_exception_fp_denorm_src 0
		.amdhsa_exception_fp_ieee_div_zero 0
		.amdhsa_exception_fp_ieee_overflow 0
		.amdhsa_exception_fp_ieee_underflow 0
		.amdhsa_exception_fp_ieee_inexact 0
		.amdhsa_exception_int_div_zero 0
	.end_amdhsa_kernel
	.section	.text._Z15sort_key_kernelILj128ELj4ELb0ELb0EN10test_utils16custom_test_typeIsEEEvPT3_jj,"axG",@progbits,_Z15sort_key_kernelILj128ELj4ELb0ELb0EN10test_utils16custom_test_typeIsEEEvPT3_jj,comdat
.Lfunc_end2:
	.size	_Z15sort_key_kernelILj128ELj4ELb0ELb0EN10test_utils16custom_test_typeIsEEEvPT3_jj, .Lfunc_end2-_Z15sort_key_kernelILj128ELj4ELb0ELb0EN10test_utils16custom_test_typeIsEEEvPT3_jj
                                        ; -- End function
	.section	.AMDGPU.csdata,"",@progbits
; Kernel info:
; codeLenInByte = 10892
; NumSgprs: 34
; NumVgprs: 59
; ScratchSize: 0
; MemoryBound: 0
; FloatMode: 240
; IeeeMode: 1
; LDSByteSize: 4112 bytes/workgroup (compile time only)
; SGPRBlocks: 4
; VGPRBlocks: 7
; NumSGPRsForWavesPerEU: 34
; NumVGPRsForWavesPerEU: 59
; Occupancy: 16
; WaveLimiterHint : 0
; COMPUTE_PGM_RSRC2:SCRATCH_EN: 0
; COMPUTE_PGM_RSRC2:USER_SGPR: 15
; COMPUTE_PGM_RSRC2:TRAP_HANDLER: 0
; COMPUTE_PGM_RSRC2:TGID_X_EN: 1
; COMPUTE_PGM_RSRC2:TGID_Y_EN: 0
; COMPUTE_PGM_RSRC2:TGID_Z_EN: 0
; COMPUTE_PGM_RSRC2:TIDIG_COMP_CNT: 2
	.section	.text._Z15sort_key_kernelILj60ELj1ELb0ELb1EtEvPT3_jj,"axG",@progbits,_Z15sort_key_kernelILj60ELj1ELb0ELb1EtEvPT3_jj,comdat
	.protected	_Z15sort_key_kernelILj60ELj1ELb0ELb1EtEvPT3_jj ; -- Begin function _Z15sort_key_kernelILj60ELj1ELb0ELb1EtEvPT3_jj
	.globl	_Z15sort_key_kernelILj60ELj1ELb0ELb1EtEvPT3_jj
	.p2align	8
	.type	_Z15sort_key_kernelILj60ELj1ELb0ELb1EtEvPT3_jj,@function
_Z15sort_key_kernelILj60ELj1ELb0ELb1EtEvPT3_jj: ; @_Z15sort_key_kernelILj60ELj1ELb0ELb1EtEvPT3_jj
; %bb.0:
	s_load_b128 s[16:19], s[0:1], 0x0
	s_mov_b32 s1, 0
	s_mul_i32 s0, s15, 60
	v_lshlrev_b32_e32 v18, 1, v0
	s_lshl_b64 s[0:1], s[0:1], 1
	v_mbcnt_lo_u32_b32 v2, -1, 0
	v_and_b32_e32 v5, 32, v0
	v_lshrrev_b32_e32 v7, 3, v0
	v_cmp_gt_u32_e64 s10, 0x1e0, v0
	v_cmp_gt_u32_e64 s2, 2, v0
	v_and_b32_e32 v3, 15, v2
	v_add_nc_u32_e32 v6, -1, v2
	v_and_b32_e32 v4, 16, v2
	v_and_b32_e32 v8, 1, v2
	v_lshlrev_b32_e32 v16, 2, v0
	v_cmp_eq_u32_e64 s8, 0, v3
	v_cmp_lt_u32_e64 s7, 1, v3
	v_cmp_lt_u32_e64 s6, 3, v3
	;; [unrolled: 1-line block ×3, first 2 shown]
	v_min_u32_e32 v3, 28, v5
	s_waitcnt lgkmcnt(0)
	s_add_u32 s12, s16, s0
	s_addc_u32 s13, s17, s1
	v_cmp_gt_i32_e32 vcc_lo, 0, v6
	global_load_u16 v1, v18, s[12:13]
	v_lshlrev_b32_e32 v11, 5, v0
	s_cmp_eq_u32 s18, 0
	v_cmp_eq_u32_e64 s0, 0, v2
	v_cndmask_b32_e32 v2, v6, v2, vcc_lo
	s_cselect_b32 s11, -1, 0
	s_cmp_eq_u32 s19, 16
	v_mad_i32_i24 v15, 0xffffffe4, v0, v11
	v_add_nc_u32_e32 v3, 31, v3
	s_cselect_b32 s14, -1, 0
	v_add_co_u32 v9, s12, s12, v18
	s_and_b32 s11, s11, s14
	v_cmp_lt_u32_e64 s1, 31, v0
	v_cmp_eq_u32_e64 s4, 0, v4
	v_and_b32_e32 v14, 4, v7
	v_cmp_eq_u32_e64 s3, 0, v8
	v_lshlrev_b32_e32 v13, 2, v2
	v_sub_nc_u32_e32 v12, v15, v18
	v_cmp_eq_u32_e64 s9, v3, v0
	v_add_co_ci_u32_e64 v10, null, s13, 0, s12
	s_and_b32 vcc_lo, exec_lo, s11
	v_cmp_gt_u32_e64 s11, 0x1a4, v0
	s_mov_b32 s12, -1
	s_waitcnt vmcnt(0)
	v_xor_b32_e32 v17, -1, v1
	s_cbranch_vccnz .LBB3_21
; %bb.1:
	v_cmp_gt_u32_e64 s12, 0x168, v0
	v_cmp_gt_u32_e64 s13, 0x12c, v0
	;; [unrolled: 1-line block ×6, first 2 shown]
	v_dual_mov_b32 v19, 0 :: v_dual_mov_b32 v2, v17
	s_sub_i32 s20, s19, s18
	s_branch .LBB3_3
.LBB3_2:                                ;   in Loop: Header=BB3_3 Depth=1
	s_barrier
	buffer_gl0_inv
	ds_store_b16 v1, v20
	s_waitcnt lgkmcnt(0)
	s_barrier
	buffer_gl0_inv
	ds_load_u16 v2, v12
	s_add_i32 s20, s20, -4
	s_waitcnt lgkmcnt(0)
	s_barrier
	buffer_gl0_inv
	s_cbranch_execz .LBB3_20
.LBB3_3:                                ; =>This Inner Loop Header: Depth=1
	s_delay_alu instid0(VALU_DEP_1)
	v_mov_b32_e32 v20, v2
	s_and_saveexec_b32 s21, s10
	s_cbranch_execz .LBB3_12
; %bb.4:                                ;   in Loop: Header=BB3_3 Depth=1
	ds_store_b32 v16, v19
	s_and_b32 exec_lo, exec_lo, s11
	s_cbranch_execz .LBB3_12
; %bb.5:                                ;   in Loop: Header=BB3_3 Depth=1
	ds_store_b32 v16, v19 offset:240
	s_and_b32 exec_lo, exec_lo, s12
	s_cbranch_execz .LBB3_12
; %bb.6:                                ;   in Loop: Header=BB3_3 Depth=1
	ds_store_b32 v16, v19 offset:480
	;; [unrolled: 4-line block ×5, first 2 shown]
	s_and_b32 exec_lo, exec_lo, s16
	s_cbranch_execz .LBB3_12
; %bb.10:                               ;   in Loop: Header=BB3_3 Depth=1
	ds_store_b32 v16, v19 offset:1440
	s_and_b32 exec_lo, exec_lo, s17
	s_cbranch_execz .LBB3_12
; %bb.11:                               ;   in Loop: Header=BB3_3 Depth=1
	ds_store_b32 v16, v19 offset:1680
.LBB3_12:                               ;   in Loop: Header=BB3_3 Depth=1
	s_or_b32 exec_lo, exec_lo, s21
	s_delay_alu instid0(VALU_DEP_1) | instskip(SKIP_1) | instid1(VALU_DEP_1)
	v_and_b32_e32 v1, 0xffff, v20
	s_min_u32 s21, s20, 4
	v_lshrrev_b32_e32 v1, s18, v1
	s_delay_alu instid0(VALU_DEP_1) | instskip(NEXT) | instid1(VALU_DEP_1)
	v_bfe_u32 v1, v1, 0, s21
	v_and_b32_e32 v2, 7, v1
	v_lshrrev_b32_e32 v1, 3, v1
	s_delay_alu instid0(VALU_DEP_2) | instskip(NEXT) | instid1(VALU_DEP_1)
	v_mul_u32_u24_e32 v2, 60, v2
	v_add_lshl_u32 v2, v2, v0, 1
	s_delay_alu instid0(VALU_DEP_1)
	v_add_lshl_u32 v21, v2, v1, 1
	ds_load_u16 v22, v21
	s_waitcnt lgkmcnt(0)
	v_add_nc_u16 v1, v22, 1
	ds_store_b16 v21, v1
	s_waitcnt lgkmcnt(0)
	s_barrier
	buffer_gl0_inv
	ds_load_2addr_b64 v[5:8], v11 offset1:1
	ds_load_2addr_b64 v[1:4], v11 offset0:2 offset1:3
	s_waitcnt lgkmcnt(1)
	v_add_nc_u32_e32 v23, v6, v5
	s_delay_alu instid0(VALU_DEP_1) | instskip(SKIP_1) | instid1(VALU_DEP_1)
	v_add3_u32 v23, v23, v7, v8
	s_waitcnt lgkmcnt(0)
	v_add3_u32 v23, v23, v1, v2
	s_delay_alu instid0(VALU_DEP_1) | instskip(NEXT) | instid1(VALU_DEP_1)
	v_add3_u32 v4, v23, v3, v4
	v_mov_b32_dpp v23, v4 row_shr:1 row_mask:0xf bank_mask:0xf
	s_delay_alu instid0(VALU_DEP_1) | instskip(NEXT) | instid1(VALU_DEP_1)
	v_cndmask_b32_e64 v23, v23, 0, s8
	v_add_nc_u32_e32 v4, v23, v4
	s_delay_alu instid0(VALU_DEP_1) | instskip(NEXT) | instid1(VALU_DEP_1)
	v_mov_b32_dpp v23, v4 row_shr:2 row_mask:0xf bank_mask:0xf
	v_cndmask_b32_e64 v23, 0, v23, s7
	s_delay_alu instid0(VALU_DEP_1) | instskip(NEXT) | instid1(VALU_DEP_1)
	v_add_nc_u32_e32 v4, v4, v23
	v_mov_b32_dpp v23, v4 row_shr:4 row_mask:0xf bank_mask:0xf
	s_delay_alu instid0(VALU_DEP_1) | instskip(NEXT) | instid1(VALU_DEP_1)
	v_cndmask_b32_e64 v23, 0, v23, s6
	v_add_nc_u32_e32 v4, v4, v23
	s_delay_alu instid0(VALU_DEP_1) | instskip(NEXT) | instid1(VALU_DEP_1)
	v_mov_b32_dpp v23, v4 row_shr:8 row_mask:0xf bank_mask:0xf
	v_cndmask_b32_e64 v23, 0, v23, s5
	s_delay_alu instid0(VALU_DEP_1) | instskip(SKIP_3) | instid1(VALU_DEP_1)
	v_add_nc_u32_e32 v4, v4, v23
	ds_swizzle_b32 v23, v4 offset:swizzle(BROADCAST,32,15)
	s_waitcnt lgkmcnt(0)
	v_cndmask_b32_e64 v23, v23, 0, s4
	v_add_nc_u32_e32 v4, v4, v23
	s_and_saveexec_b32 s21, s9
	s_cbranch_execz .LBB3_14
; %bb.13:                               ;   in Loop: Header=BB3_3 Depth=1
	ds_store_b32 v14, v4 offset:1920
.LBB3_14:                               ;   in Loop: Header=BB3_3 Depth=1
	s_or_b32 exec_lo, exec_lo, s21
	s_waitcnt lgkmcnt(0)
	s_barrier
	buffer_gl0_inv
	s_and_saveexec_b32 s21, s2
	s_cbranch_execz .LBB3_16
; %bb.15:                               ;   in Loop: Header=BB3_3 Depth=1
	ds_load_b32 v23, v15 offset:1920
	s_waitcnt lgkmcnt(0)
	v_mov_b32_dpp v24, v23 row_shr:1 row_mask:0xf bank_mask:0xf
	s_delay_alu instid0(VALU_DEP_1) | instskip(NEXT) | instid1(VALU_DEP_1)
	v_cndmask_b32_e64 v24, v24, 0, s3
	v_add_nc_u32_e32 v23, v24, v23
	ds_store_b32 v15, v23 offset:1920
.LBB3_16:                               ;   in Loop: Header=BB3_3 Depth=1
	s_or_b32 exec_lo, exec_lo, s21
	v_mov_b32_e32 v23, 0
	s_waitcnt lgkmcnt(0)
	s_barrier
	buffer_gl0_inv
	s_and_saveexec_b32 s21, s1
	s_cbranch_execz .LBB3_18
; %bb.17:                               ;   in Loop: Header=BB3_3 Depth=1
	ds_load_b32 v23, v14 offset:1916
.LBB3_18:                               ;   in Loop: Header=BB3_3 Depth=1
	s_or_b32 exec_lo, exec_lo, s21
	s_waitcnt lgkmcnt(0)
	v_add_nc_u32_e32 v4, v23, v4
	ds_load_b32 v24, v19 offset:1924
	s_add_i32 s18, s18, 4
	s_delay_alu instid0(SALU_CYCLE_1) | instskip(SKIP_3) | instid1(VALU_DEP_1)
	s_cmp_ge_u32 s18, s19
	ds_bpermute_b32 v4, v13, v4
	s_waitcnt lgkmcnt(0)
	v_cndmask_b32_e64 v4, v4, v23, s0
	v_lshl_add_u32 v4, v24, 16, v4
	s_delay_alu instid0(VALU_DEP_1) | instskip(NEXT) | instid1(VALU_DEP_1)
	v_add_nc_u32_e32 v5, v4, v5
	v_add_nc_u32_e32 v6, v5, v6
	s_delay_alu instid0(VALU_DEP_1) | instskip(NEXT) | instid1(VALU_DEP_1)
	v_add_nc_u32_e32 v7, v6, v7
	v_add_nc_u32_e32 v23, v7, v8
	;; [unrolled: 3-line block ×3, first 2 shown]
	s_delay_alu instid0(VALU_DEP_1)
	v_add_nc_u32_e32 v2, v1, v3
	ds_store_2addr_b64 v11, v[4:5], v[6:7] offset1:1
	ds_store_2addr_b64 v11, v[23:24], v[1:2] offset0:2 offset1:3
	s_waitcnt lgkmcnt(0)
	s_barrier
	buffer_gl0_inv
	ds_load_u16 v1, v21
	v_and_b32_e32 v2, 0xffff, v22
	s_waitcnt lgkmcnt(0)
	s_delay_alu instid0(VALU_DEP_1) | instskip(NEXT) | instid1(VALU_DEP_1)
	v_lshlrev_b32_e32 v2, 1, v2
	v_lshl_add_u32 v1, v1, 1, v2
	s_cbranch_scc0 .LBB3_2
; %bb.19:
                                        ; implicit-def: $vgpr2
                                        ; implicit-def: $sgpr20
.LBB3_20:
	s_mov_b32 s12, 0
	s_barrier
	buffer_gl0_inv
	ds_store_b16 v1, v20
	s_waitcnt lgkmcnt(0)
	s_barrier
.LBB3_21:
	s_and_b32 vcc_lo, exec_lo, s12
	s_cbranch_vccz .LBB3_83
; %bb.22:
	s_and_saveexec_b32 s11, s10
	s_cbranch_execz .LBB3_31
; %bb.23:
	v_dual_mov_b32 v2, 0 :: v_dual_add_nc_u32 v1, v12, v18
	v_cmp_gt_u32_e32 vcc_lo, 0x1a4, v0
	ds_store_b32 v1, v2
	s_and_b32 exec_lo, exec_lo, vcc_lo
	s_cbranch_execz .LBB3_31
; %bb.24:
	v_cmp_gt_u32_e32 vcc_lo, 0x168, v0
	ds_store_b32 v1, v2 offset:240
	s_and_b32 exec_lo, exec_lo, vcc_lo
	s_cbranch_execz .LBB3_31
; %bb.25:
	v_mov_b32_e32 v2, 0
	v_cmp_gt_u32_e32 vcc_lo, 0x12c, v0
	ds_store_b32 v1, v2 offset:480
	s_and_b32 exec_lo, exec_lo, vcc_lo
	s_cbranch_execz .LBB3_31
; %bb.26:
	v_cmp_gt_u32_e32 vcc_lo, 0xf0, v0
	ds_store_b32 v1, v2 offset:720
	s_and_b32 exec_lo, exec_lo, vcc_lo
	s_cbranch_execz .LBB3_31
; %bb.27:
	v_mov_b32_e32 v2, 0
	v_cmp_gt_u32_e32 vcc_lo, 0xb4, v0
	ds_store_b32 v1, v2 offset:960
	;; [unrolled: 11-line block ×3, first 2 shown]
	s_and_b32 exec_lo, exec_lo, vcc_lo
	s_cbranch_execz .LBB3_31
; %bb.30:
	ds_store_b32 v1, v2 offset:1680
.LBB3_31:
	s_or_b32 exec_lo, exec_lo, s11
	v_and_b32_e32 v1, 0xffff, v17
	s_delay_alu instid0(VALU_DEP_1) | instskip(SKIP_1) | instid1(VALU_DEP_2)
	v_and_b32_e32 v2, 7, v1
	v_lshrrev_b32_e32 v1, 2, v1
	v_mad_u32_u24 v2, v2, 60, v0
	s_delay_alu instid0(VALU_DEP_2) | instskip(NEXT) | instid1(VALU_DEP_1)
	v_and_b32_e32 v1, 2, v1
	v_lshl_or_b32 v18, v2, 2, v1
	ds_load_u16 v19, v18
	s_waitcnt lgkmcnt(0)
	v_add_nc_u16 v1, v19, 1
	ds_store_b16 v18, v1
	s_waitcnt lgkmcnt(0)
	s_barrier
	buffer_gl0_inv
	ds_load_2addr_b64 v[5:8], v11 offset1:1
	ds_load_2addr_b64 v[1:4], v11 offset0:2 offset1:3
	s_waitcnt lgkmcnt(1)
	v_add_nc_u32_e32 v20, v6, v5
	s_delay_alu instid0(VALU_DEP_1) | instskip(SKIP_1) | instid1(VALU_DEP_1)
	v_add3_u32 v20, v20, v7, v8
	s_waitcnt lgkmcnt(0)
	v_add3_u32 v20, v20, v1, v2
	s_delay_alu instid0(VALU_DEP_1) | instskip(NEXT) | instid1(VALU_DEP_1)
	v_add3_u32 v4, v20, v3, v4
	v_mov_b32_dpp v20, v4 row_shr:1 row_mask:0xf bank_mask:0xf
	s_delay_alu instid0(VALU_DEP_1) | instskip(NEXT) | instid1(VALU_DEP_1)
	v_cndmask_b32_e64 v20, v20, 0, s8
	v_add_nc_u32_e32 v4, v20, v4
	s_delay_alu instid0(VALU_DEP_1) | instskip(NEXT) | instid1(VALU_DEP_1)
	v_mov_b32_dpp v20, v4 row_shr:2 row_mask:0xf bank_mask:0xf
	v_cndmask_b32_e64 v20, 0, v20, s7
	s_delay_alu instid0(VALU_DEP_1) | instskip(NEXT) | instid1(VALU_DEP_1)
	v_add_nc_u32_e32 v4, v4, v20
	v_mov_b32_dpp v20, v4 row_shr:4 row_mask:0xf bank_mask:0xf
	s_delay_alu instid0(VALU_DEP_1) | instskip(NEXT) | instid1(VALU_DEP_1)
	v_cndmask_b32_e64 v20, 0, v20, s6
	v_add_nc_u32_e32 v4, v4, v20
	s_delay_alu instid0(VALU_DEP_1) | instskip(NEXT) | instid1(VALU_DEP_1)
	v_mov_b32_dpp v20, v4 row_shr:8 row_mask:0xf bank_mask:0xf
	v_cndmask_b32_e64 v20, 0, v20, s5
	s_delay_alu instid0(VALU_DEP_1) | instskip(SKIP_3) | instid1(VALU_DEP_1)
	v_add_nc_u32_e32 v4, v4, v20
	ds_swizzle_b32 v20, v4 offset:swizzle(BROADCAST,32,15)
	s_waitcnt lgkmcnt(0)
	v_cndmask_b32_e64 v20, v20, 0, s4
	v_add_nc_u32_e32 v4, v4, v20
	s_and_saveexec_b32 s11, s9
	s_cbranch_execz .LBB3_33
; %bb.32:
	ds_store_b32 v14, v4 offset:1920
.LBB3_33:
	s_or_b32 exec_lo, exec_lo, s11
	s_waitcnt lgkmcnt(0)
	s_barrier
	buffer_gl0_inv
	s_and_saveexec_b32 s11, s2
	s_cbranch_execz .LBB3_35
; %bb.34:
	ds_load_b32 v20, v15 offset:1920
	s_waitcnt lgkmcnt(0)
	v_mov_b32_dpp v21, v20 row_shr:1 row_mask:0xf bank_mask:0xf
	s_delay_alu instid0(VALU_DEP_1) | instskip(NEXT) | instid1(VALU_DEP_1)
	v_cndmask_b32_e64 v21, v21, 0, s3
	v_add_nc_u32_e32 v20, v21, v20
	ds_store_b32 v15, v20 offset:1920
.LBB3_35:
	s_or_b32 exec_lo, exec_lo, s11
	v_dual_mov_b32 v20, 0 :: v_dual_mov_b32 v21, 0
	s_waitcnt lgkmcnt(0)
	s_barrier
	buffer_gl0_inv
	s_and_saveexec_b32 s11, s1
	s_cbranch_execz .LBB3_37
; %bb.36:
	ds_load_b32 v21, v14 offset:1916
.LBB3_37:
	s_or_b32 exec_lo, exec_lo, s11
	s_waitcnt lgkmcnt(0)
	v_add_nc_u32_e32 v4, v21, v4
	ds_load_b32 v20, v20 offset:1924
	ds_bpermute_b32 v4, v13, v4
	s_waitcnt lgkmcnt(0)
	v_cndmask_b32_e64 v4, v4, v21, s0
	s_delay_alu instid0(VALU_DEP_1) | instskip(NEXT) | instid1(VALU_DEP_1)
	v_lshl_add_u32 v4, v20, 16, v4
	v_add_nc_u32_e32 v5, v4, v5
	s_delay_alu instid0(VALU_DEP_1) | instskip(NEXT) | instid1(VALU_DEP_1)
	v_add_nc_u32_e32 v6, v5, v6
	v_add_nc_u32_e32 v7, v6, v7
	s_delay_alu instid0(VALU_DEP_1) | instskip(NEXT) | instid1(VALU_DEP_1)
	v_add_nc_u32_e32 v20, v7, v8
	v_add_nc_u32_e32 v21, v20, v1
	s_delay_alu instid0(VALU_DEP_1) | instskip(NEXT) | instid1(VALU_DEP_1)
	v_add_nc_u32_e32 v1, v21, v2
	v_add_nc_u32_e32 v2, v1, v3
	ds_store_2addr_b64 v11, v[4:5], v[6:7] offset1:1
	ds_store_2addr_b64 v11, v[20:21], v[1:2] offset0:2 offset1:3
	s_waitcnt lgkmcnt(0)
	s_barrier
	buffer_gl0_inv
	ds_load_u16 v1, v18
	v_and_b32_e32 v2, 0xffff, v19
	s_waitcnt lgkmcnt(0)
	s_barrier
	buffer_gl0_inv
	v_lshlrev_b32_e32 v2, 1, v2
	s_delay_alu instid0(VALU_DEP_1)
	v_lshl_add_u32 v1, v1, 1, v2
	ds_store_b16 v1, v17
	s_waitcnt lgkmcnt(0)
	s_barrier
	buffer_gl0_inv
	ds_load_u16 v17, v12
	s_waitcnt lgkmcnt(0)
	s_barrier
	buffer_gl0_inv
	s_and_saveexec_b32 s11, s10
	s_cbranch_execz .LBB3_46
; %bb.38:
	v_mov_b32_e32 v1, 0
	v_cmp_gt_u32_e32 vcc_lo, 0x1a4, v0
	ds_store_b32 v16, v1
	s_and_b32 exec_lo, exec_lo, vcc_lo
	s_cbranch_execz .LBB3_46
; %bb.39:
	v_cmp_gt_u32_e32 vcc_lo, 0x168, v0
	ds_store_b32 v16, v1 offset:240
	s_and_b32 exec_lo, exec_lo, vcc_lo
	s_cbranch_execz .LBB3_46
; %bb.40:
	v_mov_b32_e32 v1, 0
	v_cmp_gt_u32_e32 vcc_lo, 0x12c, v0
	ds_store_b32 v16, v1 offset:480
	s_and_b32 exec_lo, exec_lo, vcc_lo
	s_cbranch_execz .LBB3_46
; %bb.41:
	v_cmp_gt_u32_e32 vcc_lo, 0xf0, v0
	ds_store_b32 v16, v1 offset:720
	s_and_b32 exec_lo, exec_lo, vcc_lo
	s_cbranch_execz .LBB3_46
; %bb.42:
	v_mov_b32_e32 v1, 0
	v_cmp_gt_u32_e32 vcc_lo, 0xb4, v0
	ds_store_b32 v16, v1 offset:960
	;; [unrolled: 11-line block ×3, first 2 shown]
	s_and_b32 exec_lo, exec_lo, vcc_lo
	s_cbranch_execz .LBB3_46
; %bb.45:
	ds_store_b32 v16, v1 offset:1680
.LBB3_46:
	s_or_b32 exec_lo, exec_lo, s11
	v_lshrrev_b16 v1, 4, v17
	s_delay_alu instid0(VALU_DEP_1) | instskip(NEXT) | instid1(VALU_DEP_1)
	v_and_b32_e32 v1, 0xffff, v1
	v_and_b32_e32 v2, 7, v1
	v_lshrrev_b32_e32 v1, 2, v1
	s_delay_alu instid0(VALU_DEP_2) | instskip(NEXT) | instid1(VALU_DEP_2)
	v_mad_u32_u24 v2, v2, 60, v0
	v_and_b32_e32 v1, 2, v1
	s_delay_alu instid0(VALU_DEP_1)
	v_lshl_or_b32 v18, v2, 2, v1
	ds_load_u16 v19, v18
	s_waitcnt lgkmcnt(0)
	v_add_nc_u16 v1, v19, 1
	ds_store_b16 v18, v1
	s_waitcnt lgkmcnt(0)
	s_barrier
	buffer_gl0_inv
	ds_load_2addr_b64 v[5:8], v11 offset1:1
	ds_load_2addr_b64 v[1:4], v11 offset0:2 offset1:3
	s_waitcnt lgkmcnt(1)
	v_add_nc_u32_e32 v20, v6, v5
	s_delay_alu instid0(VALU_DEP_1) | instskip(SKIP_1) | instid1(VALU_DEP_1)
	v_add3_u32 v20, v20, v7, v8
	s_waitcnt lgkmcnt(0)
	v_add3_u32 v20, v20, v1, v2
	s_delay_alu instid0(VALU_DEP_1) | instskip(NEXT) | instid1(VALU_DEP_1)
	v_add3_u32 v4, v20, v3, v4
	v_mov_b32_dpp v20, v4 row_shr:1 row_mask:0xf bank_mask:0xf
	s_delay_alu instid0(VALU_DEP_1) | instskip(NEXT) | instid1(VALU_DEP_1)
	v_cndmask_b32_e64 v20, v20, 0, s8
	v_add_nc_u32_e32 v4, v20, v4
	s_delay_alu instid0(VALU_DEP_1) | instskip(NEXT) | instid1(VALU_DEP_1)
	v_mov_b32_dpp v20, v4 row_shr:2 row_mask:0xf bank_mask:0xf
	v_cndmask_b32_e64 v20, 0, v20, s7
	s_delay_alu instid0(VALU_DEP_1) | instskip(NEXT) | instid1(VALU_DEP_1)
	v_add_nc_u32_e32 v4, v4, v20
	v_mov_b32_dpp v20, v4 row_shr:4 row_mask:0xf bank_mask:0xf
	s_delay_alu instid0(VALU_DEP_1) | instskip(NEXT) | instid1(VALU_DEP_1)
	v_cndmask_b32_e64 v20, 0, v20, s6
	v_add_nc_u32_e32 v4, v4, v20
	s_delay_alu instid0(VALU_DEP_1) | instskip(NEXT) | instid1(VALU_DEP_1)
	v_mov_b32_dpp v20, v4 row_shr:8 row_mask:0xf bank_mask:0xf
	v_cndmask_b32_e64 v20, 0, v20, s5
	s_delay_alu instid0(VALU_DEP_1) | instskip(SKIP_3) | instid1(VALU_DEP_1)
	v_add_nc_u32_e32 v4, v4, v20
	ds_swizzle_b32 v20, v4 offset:swizzle(BROADCAST,32,15)
	s_waitcnt lgkmcnt(0)
	v_cndmask_b32_e64 v20, v20, 0, s4
	v_add_nc_u32_e32 v4, v4, v20
	s_and_saveexec_b32 s11, s9
	s_cbranch_execz .LBB3_48
; %bb.47:
	ds_store_b32 v14, v4 offset:1920
.LBB3_48:
	s_or_b32 exec_lo, exec_lo, s11
	s_waitcnt lgkmcnt(0)
	s_barrier
	buffer_gl0_inv
	s_and_saveexec_b32 s11, s2
	s_cbranch_execz .LBB3_50
; %bb.49:
	ds_load_b32 v20, v15 offset:1920
	s_waitcnt lgkmcnt(0)
	v_mov_b32_dpp v21, v20 row_shr:1 row_mask:0xf bank_mask:0xf
	s_delay_alu instid0(VALU_DEP_1) | instskip(NEXT) | instid1(VALU_DEP_1)
	v_cndmask_b32_e64 v21, v21, 0, s3
	v_add_nc_u32_e32 v20, v21, v20
	ds_store_b32 v15, v20 offset:1920
.LBB3_50:
	s_or_b32 exec_lo, exec_lo, s11
	v_dual_mov_b32 v20, 0 :: v_dual_mov_b32 v21, 0
	s_waitcnt lgkmcnt(0)
	s_barrier
	buffer_gl0_inv
	s_and_saveexec_b32 s11, s1
	s_cbranch_execz .LBB3_52
; %bb.51:
	ds_load_b32 v21, v14 offset:1916
.LBB3_52:
	s_or_b32 exec_lo, exec_lo, s11
	s_waitcnt lgkmcnt(0)
	v_add_nc_u32_e32 v4, v21, v4
	ds_load_b32 v20, v20 offset:1924
	ds_bpermute_b32 v4, v13, v4
	s_waitcnt lgkmcnt(0)
	v_cndmask_b32_e64 v4, v4, v21, s0
	s_delay_alu instid0(VALU_DEP_1) | instskip(NEXT) | instid1(VALU_DEP_1)
	v_lshl_add_u32 v4, v20, 16, v4
	v_add_nc_u32_e32 v5, v4, v5
	s_delay_alu instid0(VALU_DEP_1) | instskip(NEXT) | instid1(VALU_DEP_1)
	v_add_nc_u32_e32 v6, v5, v6
	v_add_nc_u32_e32 v7, v6, v7
	s_delay_alu instid0(VALU_DEP_1) | instskip(NEXT) | instid1(VALU_DEP_1)
	v_add_nc_u32_e32 v20, v7, v8
	;; [unrolled: 3-line block ×3, first 2 shown]
	v_add_nc_u32_e32 v2, v1, v3
	ds_store_2addr_b64 v11, v[4:5], v[6:7] offset1:1
	ds_store_2addr_b64 v11, v[20:21], v[1:2] offset0:2 offset1:3
	s_waitcnt lgkmcnt(0)
	s_barrier
	buffer_gl0_inv
	ds_load_u16 v1, v18
	v_and_b32_e32 v2, 0xffff, v19
	s_waitcnt lgkmcnt(0)
	s_barrier
	buffer_gl0_inv
	v_lshlrev_b32_e32 v2, 1, v2
	s_delay_alu instid0(VALU_DEP_1)
	v_lshl_add_u32 v1, v1, 1, v2
	ds_store_b16 v1, v17
	s_waitcnt lgkmcnt(0)
	s_barrier
	buffer_gl0_inv
	ds_load_u16 v17, v12
	s_waitcnt lgkmcnt(0)
	s_barrier
	buffer_gl0_inv
	s_and_saveexec_b32 s11, s10
	s_cbranch_execz .LBB3_61
; %bb.53:
	v_mov_b32_e32 v1, 0
	v_cmp_gt_u32_e32 vcc_lo, 0x1a4, v0
	ds_store_b32 v16, v1
	s_and_b32 exec_lo, exec_lo, vcc_lo
	s_cbranch_execz .LBB3_61
; %bb.54:
	v_cmp_gt_u32_e32 vcc_lo, 0x168, v0
	ds_store_b32 v16, v1 offset:240
	s_and_b32 exec_lo, exec_lo, vcc_lo
	s_cbranch_execz .LBB3_61
; %bb.55:
	v_mov_b32_e32 v1, 0
	v_cmp_gt_u32_e32 vcc_lo, 0x12c, v0
	ds_store_b32 v16, v1 offset:480
	s_and_b32 exec_lo, exec_lo, vcc_lo
	s_cbranch_execz .LBB3_61
; %bb.56:
	v_cmp_gt_u32_e32 vcc_lo, 0xf0, v0
	ds_store_b32 v16, v1 offset:720
	s_and_b32 exec_lo, exec_lo, vcc_lo
	s_cbranch_execz .LBB3_61
; %bb.57:
	v_mov_b32_e32 v1, 0
	v_cmp_gt_u32_e32 vcc_lo, 0xb4, v0
	ds_store_b32 v16, v1 offset:960
	;; [unrolled: 11-line block ×3, first 2 shown]
	s_and_b32 exec_lo, exec_lo, vcc_lo
	s_cbranch_execz .LBB3_61
; %bb.60:
	ds_store_b32 v16, v1 offset:1680
.LBB3_61:
	s_or_b32 exec_lo, exec_lo, s11
	v_lshrrev_b16 v1, 8, v17
	s_delay_alu instid0(VALU_DEP_1) | instskip(NEXT) | instid1(VALU_DEP_1)
	v_and_b32_e32 v1, 0xffff, v1
	v_and_b32_e32 v2, 7, v1
	v_lshrrev_b32_e32 v1, 2, v1
	s_delay_alu instid0(VALU_DEP_2) | instskip(NEXT) | instid1(VALU_DEP_2)
	v_mad_u32_u24 v2, v2, 60, v0
	v_and_b32_e32 v1, 2, v1
	s_delay_alu instid0(VALU_DEP_1)
	v_lshl_or_b32 v18, v2, 2, v1
	ds_load_u16 v19, v18
	s_waitcnt lgkmcnt(0)
	v_add_nc_u16 v1, v19, 1
	ds_store_b16 v18, v1
	s_waitcnt lgkmcnt(0)
	s_barrier
	buffer_gl0_inv
	ds_load_2addr_b64 v[5:8], v11 offset1:1
	ds_load_2addr_b64 v[1:4], v11 offset0:2 offset1:3
	s_waitcnt lgkmcnt(1)
	v_add_nc_u32_e32 v20, v6, v5
	s_delay_alu instid0(VALU_DEP_1) | instskip(SKIP_1) | instid1(VALU_DEP_1)
	v_add3_u32 v20, v20, v7, v8
	s_waitcnt lgkmcnt(0)
	v_add3_u32 v20, v20, v1, v2
	s_delay_alu instid0(VALU_DEP_1) | instskip(NEXT) | instid1(VALU_DEP_1)
	v_add3_u32 v4, v20, v3, v4
	v_mov_b32_dpp v20, v4 row_shr:1 row_mask:0xf bank_mask:0xf
	s_delay_alu instid0(VALU_DEP_1) | instskip(NEXT) | instid1(VALU_DEP_1)
	v_cndmask_b32_e64 v20, v20, 0, s8
	v_add_nc_u32_e32 v4, v20, v4
	s_delay_alu instid0(VALU_DEP_1) | instskip(NEXT) | instid1(VALU_DEP_1)
	v_mov_b32_dpp v20, v4 row_shr:2 row_mask:0xf bank_mask:0xf
	v_cndmask_b32_e64 v20, 0, v20, s7
	s_delay_alu instid0(VALU_DEP_1) | instskip(NEXT) | instid1(VALU_DEP_1)
	v_add_nc_u32_e32 v4, v4, v20
	v_mov_b32_dpp v20, v4 row_shr:4 row_mask:0xf bank_mask:0xf
	s_delay_alu instid0(VALU_DEP_1) | instskip(NEXT) | instid1(VALU_DEP_1)
	v_cndmask_b32_e64 v20, 0, v20, s6
	v_add_nc_u32_e32 v4, v4, v20
	s_delay_alu instid0(VALU_DEP_1) | instskip(NEXT) | instid1(VALU_DEP_1)
	v_mov_b32_dpp v20, v4 row_shr:8 row_mask:0xf bank_mask:0xf
	v_cndmask_b32_e64 v20, 0, v20, s5
	s_delay_alu instid0(VALU_DEP_1) | instskip(SKIP_3) | instid1(VALU_DEP_1)
	v_add_nc_u32_e32 v4, v4, v20
	ds_swizzle_b32 v20, v4 offset:swizzle(BROADCAST,32,15)
	s_waitcnt lgkmcnt(0)
	v_cndmask_b32_e64 v20, v20, 0, s4
	v_add_nc_u32_e32 v4, v4, v20
	s_and_saveexec_b32 s11, s9
	s_cbranch_execz .LBB3_63
; %bb.62:
	ds_store_b32 v14, v4 offset:1920
.LBB3_63:
	s_or_b32 exec_lo, exec_lo, s11
	s_waitcnt lgkmcnt(0)
	s_barrier
	buffer_gl0_inv
	s_and_saveexec_b32 s11, s2
	s_cbranch_execz .LBB3_65
; %bb.64:
	ds_load_b32 v20, v15 offset:1920
	s_waitcnt lgkmcnt(0)
	v_mov_b32_dpp v21, v20 row_shr:1 row_mask:0xf bank_mask:0xf
	s_delay_alu instid0(VALU_DEP_1) | instskip(NEXT) | instid1(VALU_DEP_1)
	v_cndmask_b32_e64 v21, v21, 0, s3
	v_add_nc_u32_e32 v20, v21, v20
	ds_store_b32 v15, v20 offset:1920
.LBB3_65:
	s_or_b32 exec_lo, exec_lo, s11
	v_dual_mov_b32 v20, 0 :: v_dual_mov_b32 v21, 0
	s_waitcnt lgkmcnt(0)
	s_barrier
	buffer_gl0_inv
	s_and_saveexec_b32 s11, s1
	s_cbranch_execz .LBB3_67
; %bb.66:
	ds_load_b32 v21, v14 offset:1916
.LBB3_67:
	s_or_b32 exec_lo, exec_lo, s11
	s_waitcnt lgkmcnt(0)
	v_add_nc_u32_e32 v4, v21, v4
	ds_load_b32 v20, v20 offset:1924
	ds_bpermute_b32 v4, v13, v4
	s_waitcnt lgkmcnt(0)
	v_cndmask_b32_e64 v4, v4, v21, s0
	s_delay_alu instid0(VALU_DEP_1) | instskip(NEXT) | instid1(VALU_DEP_1)
	v_lshl_add_u32 v4, v20, 16, v4
	v_add_nc_u32_e32 v5, v4, v5
	s_delay_alu instid0(VALU_DEP_1) | instskip(NEXT) | instid1(VALU_DEP_1)
	v_add_nc_u32_e32 v6, v5, v6
	v_add_nc_u32_e32 v7, v6, v7
	s_delay_alu instid0(VALU_DEP_1) | instskip(NEXT) | instid1(VALU_DEP_1)
	v_add_nc_u32_e32 v20, v7, v8
	;; [unrolled: 3-line block ×3, first 2 shown]
	v_add_nc_u32_e32 v2, v1, v3
	ds_store_2addr_b64 v11, v[4:5], v[6:7] offset1:1
	ds_store_2addr_b64 v11, v[20:21], v[1:2] offset0:2 offset1:3
	s_waitcnt lgkmcnt(0)
	s_barrier
	buffer_gl0_inv
	ds_load_u16 v1, v18
	v_and_b32_e32 v2, 0xffff, v19
	s_waitcnt lgkmcnt(0)
	s_barrier
	buffer_gl0_inv
	v_lshlrev_b32_e32 v2, 1, v2
	s_delay_alu instid0(VALU_DEP_1)
	v_lshl_add_u32 v1, v1, 1, v2
	ds_store_b16 v1, v17
	s_waitcnt lgkmcnt(0)
	s_barrier
	buffer_gl0_inv
	ds_load_u16 v8, v12
	s_waitcnt lgkmcnt(0)
	s_barrier
	buffer_gl0_inv
	s_and_saveexec_b32 s11, s10
	s_cbranch_execz .LBB3_76
; %bb.68:
	v_mov_b32_e32 v1, 0
	v_cmp_gt_u32_e32 vcc_lo, 0x1a4, v0
	ds_store_b32 v16, v1
	s_and_b32 exec_lo, exec_lo, vcc_lo
	s_cbranch_execz .LBB3_76
; %bb.69:
	v_cmp_gt_u32_e32 vcc_lo, 0x168, v0
	ds_store_b32 v16, v1 offset:240
	s_and_b32 exec_lo, exec_lo, vcc_lo
	s_cbranch_execz .LBB3_76
; %bb.70:
	v_mov_b32_e32 v1, 0
	v_cmp_gt_u32_e32 vcc_lo, 0x12c, v0
	ds_store_b32 v16, v1 offset:480
	s_and_b32 exec_lo, exec_lo, vcc_lo
	s_cbranch_execz .LBB3_76
; %bb.71:
	v_cmp_gt_u32_e32 vcc_lo, 0xf0, v0
	ds_store_b32 v16, v1 offset:720
	s_and_b32 exec_lo, exec_lo, vcc_lo
	s_cbranch_execz .LBB3_76
; %bb.72:
	v_mov_b32_e32 v1, 0
	v_cmp_gt_u32_e32 vcc_lo, 0xb4, v0
	ds_store_b32 v16, v1 offset:960
	;; [unrolled: 11-line block ×3, first 2 shown]
	s_and_b32 exec_lo, exec_lo, vcc_lo
	s_cbranch_execz .LBB3_76
; %bb.75:
	ds_store_b32 v16, v1 offset:1680
.LBB3_76:
	s_or_b32 exec_lo, exec_lo, s11
	v_lshrrev_b16 v1, 12, v8
	s_delay_alu instid0(VALU_DEP_1) | instskip(NEXT) | instid1(VALU_DEP_1)
	v_and_b32_e32 v1, 0xffff, v1
	v_and_b32_e32 v2, 7, v1
	v_lshrrev_b32_e32 v1, 2, v1
	s_delay_alu instid0(VALU_DEP_2) | instskip(NEXT) | instid1(VALU_DEP_2)
	v_mad_u32_u24 v0, v2, 60, v0
	v_and_b32_e32 v1, 2, v1
	s_delay_alu instid0(VALU_DEP_1)
	v_lshl_or_b32 v16, v0, 2, v1
	ds_load_u16 v17, v16
	s_waitcnt lgkmcnt(0)
	v_add_nc_u16 v0, v17, 1
	ds_store_b16 v16, v0
	s_waitcnt lgkmcnt(0)
	s_barrier
	buffer_gl0_inv
	ds_load_2addr_b64 v[4:7], v11 offset1:1
	ds_load_2addr_b64 v[0:3], v11 offset0:2 offset1:3
	s_waitcnt lgkmcnt(1)
	v_add_nc_u32_e32 v18, v5, v4
	s_delay_alu instid0(VALU_DEP_1) | instskip(SKIP_1) | instid1(VALU_DEP_1)
	v_add3_u32 v18, v18, v6, v7
	s_waitcnt lgkmcnt(0)
	v_add3_u32 v18, v18, v0, v1
	s_delay_alu instid0(VALU_DEP_1) | instskip(NEXT) | instid1(VALU_DEP_1)
	v_add3_u32 v3, v18, v2, v3
	v_mov_b32_dpp v18, v3 row_shr:1 row_mask:0xf bank_mask:0xf
	s_delay_alu instid0(VALU_DEP_1) | instskip(NEXT) | instid1(VALU_DEP_1)
	v_cndmask_b32_e64 v18, v18, 0, s8
	v_add_nc_u32_e32 v3, v18, v3
	s_delay_alu instid0(VALU_DEP_1) | instskip(NEXT) | instid1(VALU_DEP_1)
	v_mov_b32_dpp v18, v3 row_shr:2 row_mask:0xf bank_mask:0xf
	v_cndmask_b32_e64 v18, 0, v18, s7
	s_delay_alu instid0(VALU_DEP_1) | instskip(NEXT) | instid1(VALU_DEP_1)
	v_add_nc_u32_e32 v3, v3, v18
	v_mov_b32_dpp v18, v3 row_shr:4 row_mask:0xf bank_mask:0xf
	s_delay_alu instid0(VALU_DEP_1) | instskip(NEXT) | instid1(VALU_DEP_1)
	v_cndmask_b32_e64 v18, 0, v18, s6
	v_add_nc_u32_e32 v3, v3, v18
	s_delay_alu instid0(VALU_DEP_1) | instskip(NEXT) | instid1(VALU_DEP_1)
	v_mov_b32_dpp v18, v3 row_shr:8 row_mask:0xf bank_mask:0xf
	v_cndmask_b32_e64 v18, 0, v18, s5
	s_delay_alu instid0(VALU_DEP_1) | instskip(SKIP_3) | instid1(VALU_DEP_1)
	v_add_nc_u32_e32 v3, v3, v18
	ds_swizzle_b32 v18, v3 offset:swizzle(BROADCAST,32,15)
	s_waitcnt lgkmcnt(0)
	v_cndmask_b32_e64 v18, v18, 0, s4
	v_add_nc_u32_e32 v3, v3, v18
	s_and_saveexec_b32 s4, s9
	s_cbranch_execz .LBB3_78
; %bb.77:
	ds_store_b32 v14, v3 offset:1920
.LBB3_78:
	s_or_b32 exec_lo, exec_lo, s4
	s_waitcnt lgkmcnt(0)
	s_barrier
	buffer_gl0_inv
	s_and_saveexec_b32 s4, s2
	s_cbranch_execz .LBB3_80
; %bb.79:
	ds_load_b32 v18, v15 offset:1920
	s_waitcnt lgkmcnt(0)
	v_mov_b32_dpp v19, v18 row_shr:1 row_mask:0xf bank_mask:0xf
	s_delay_alu instid0(VALU_DEP_1) | instskip(NEXT) | instid1(VALU_DEP_1)
	v_cndmask_b32_e64 v19, v19, 0, s3
	v_add_nc_u32_e32 v18, v19, v18
	ds_store_b32 v15, v18 offset:1920
.LBB3_80:
	s_or_b32 exec_lo, exec_lo, s4
	v_dual_mov_b32 v15, 0 :: v_dual_mov_b32 v18, 0
	s_waitcnt lgkmcnt(0)
	s_barrier
	buffer_gl0_inv
	s_and_saveexec_b32 s2, s1
	s_cbranch_execz .LBB3_82
; %bb.81:
	ds_load_b32 v18, v14 offset:1916
.LBB3_82:
	s_or_b32 exec_lo, exec_lo, s2
	s_waitcnt lgkmcnt(0)
	v_add_nc_u32_e32 v3, v18, v3
	ds_bpermute_b32 v3, v13, v3
	ds_load_b32 v13, v15 offset:1924
	s_waitcnt lgkmcnt(1)
	v_cndmask_b32_e64 v3, v3, v18, s0
	s_waitcnt lgkmcnt(0)
	s_delay_alu instid0(VALU_DEP_1) | instskip(NEXT) | instid1(VALU_DEP_1)
	v_lshl_add_u32 v3, v13, 16, v3
	v_add_nc_u32_e32 v4, v3, v4
	s_delay_alu instid0(VALU_DEP_1) | instskip(NEXT) | instid1(VALU_DEP_1)
	v_add_nc_u32_e32 v5, v4, v5
	v_add_nc_u32_e32 v6, v5, v6
	s_delay_alu instid0(VALU_DEP_1) | instskip(NEXT) | instid1(VALU_DEP_1)
	v_add_nc_u32_e32 v13, v6, v7
	;; [unrolled: 3-line block ×3, first 2 shown]
	v_add_nc_u32_e32 v1, v0, v2
	ds_store_2addr_b64 v11, v[3:4], v[5:6] offset1:1
	ds_store_2addr_b64 v11, v[13:14], v[0:1] offset0:2 offset1:3
	s_waitcnt lgkmcnt(0)
	s_barrier
	buffer_gl0_inv
	ds_load_u16 v0, v16
	v_and_b32_e32 v1, 0xffff, v17
	s_waitcnt lgkmcnt(0)
	s_barrier
	buffer_gl0_inv
	v_lshlrev_b32_e32 v1, 1, v1
	s_delay_alu instid0(VALU_DEP_1)
	v_lshl_add_u32 v0, v0, 1, v1
	ds_store_b16 v0, v8
	s_waitcnt lgkmcnt(0)
	s_barrier
.LBB3_83:
	buffer_gl0_inv
	ds_load_u16 v0, v12
	s_waitcnt lgkmcnt(0)
	v_xor_b32_e32 v0, -1, v0
	global_store_b16 v[9:10], v0, off
	s_nop 0
	s_sendmsg sendmsg(MSG_DEALLOC_VGPRS)
	s_endpgm
	.section	.rodata,"a",@progbits
	.p2align	6, 0x0
	.amdhsa_kernel _Z15sort_key_kernelILj60ELj1ELb0ELb1EtEvPT3_jj
		.amdhsa_group_segment_fixed_size 1936
		.amdhsa_private_segment_fixed_size 0
		.amdhsa_kernarg_size 16
		.amdhsa_user_sgpr_count 15
		.amdhsa_user_sgpr_dispatch_ptr 0
		.amdhsa_user_sgpr_queue_ptr 0
		.amdhsa_user_sgpr_kernarg_segment_ptr 1
		.amdhsa_user_sgpr_dispatch_id 0
		.amdhsa_user_sgpr_private_segment_size 0
		.amdhsa_wavefront_size32 1
		.amdhsa_uses_dynamic_stack 0
		.amdhsa_enable_private_segment 0
		.amdhsa_system_sgpr_workgroup_id_x 1
		.amdhsa_system_sgpr_workgroup_id_y 0
		.amdhsa_system_sgpr_workgroup_id_z 0
		.amdhsa_system_sgpr_workgroup_info 0
		.amdhsa_system_vgpr_workitem_id 0
		.amdhsa_next_free_vgpr 25
		.amdhsa_next_free_sgpr 22
		.amdhsa_reserve_vcc 1
		.amdhsa_float_round_mode_32 0
		.amdhsa_float_round_mode_16_64 0
		.amdhsa_float_denorm_mode_32 3
		.amdhsa_float_denorm_mode_16_64 3
		.amdhsa_dx10_clamp 1
		.amdhsa_ieee_mode 1
		.amdhsa_fp16_overflow 0
		.amdhsa_workgroup_processor_mode 1
		.amdhsa_memory_ordered 1
		.amdhsa_forward_progress 0
		.amdhsa_shared_vgpr_count 0
		.amdhsa_exception_fp_ieee_invalid_op 0
		.amdhsa_exception_fp_denorm_src 0
		.amdhsa_exception_fp_ieee_div_zero 0
		.amdhsa_exception_fp_ieee_overflow 0
		.amdhsa_exception_fp_ieee_underflow 0
		.amdhsa_exception_fp_ieee_inexact 0
		.amdhsa_exception_int_div_zero 0
	.end_amdhsa_kernel
	.section	.text._Z15sort_key_kernelILj60ELj1ELb0ELb1EtEvPT3_jj,"axG",@progbits,_Z15sort_key_kernelILj60ELj1ELb0ELb1EtEvPT3_jj,comdat
.Lfunc_end3:
	.size	_Z15sort_key_kernelILj60ELj1ELb0ELb1EtEvPT3_jj, .Lfunc_end3-_Z15sort_key_kernelILj60ELj1ELb0ELb1EtEvPT3_jj
                                        ; -- End function
	.section	.AMDGPU.csdata,"",@progbits
; Kernel info:
; codeLenInByte = 4588
; NumSgprs: 24
; NumVgprs: 25
; ScratchSize: 0
; MemoryBound: 0
; FloatMode: 240
; IeeeMode: 1
; LDSByteSize: 1936 bytes/workgroup (compile time only)
; SGPRBlocks: 2
; VGPRBlocks: 3
; NumSGPRsForWavesPerEU: 24
; NumVGPRsForWavesPerEU: 25
; Occupancy: 16
; WaveLimiterHint : 0
; COMPUTE_PGM_RSRC2:SCRATCH_EN: 0
; COMPUTE_PGM_RSRC2:USER_SGPR: 15
; COMPUTE_PGM_RSRC2:TRAP_HANDLER: 0
; COMPUTE_PGM_RSRC2:TGID_X_EN: 1
; COMPUTE_PGM_RSRC2:TGID_Y_EN: 0
; COMPUTE_PGM_RSRC2:TGID_Z_EN: 0
; COMPUTE_PGM_RSRC2:TIDIG_COMP_CNT: 0
	.section	.text._Z15sort_key_kernelILj512ELj2ELb1ELb0EhEvPT3_jj,"axG",@progbits,_Z15sort_key_kernelILj512ELj2ELb1ELb0EhEvPT3_jj,comdat
	.protected	_Z15sort_key_kernelILj512ELj2ELb1ELb0EhEvPT3_jj ; -- Begin function _Z15sort_key_kernelILj512ELj2ELb1ELb0EhEvPT3_jj
	.globl	_Z15sort_key_kernelILj512ELj2ELb1ELb0EhEvPT3_jj
	.p2align	8
	.type	_Z15sort_key_kernelILj512ELj2ELb1ELb0EhEvPT3_jj,@function
_Z15sort_key_kernelILj512ELj2ELb1ELb0EhEvPT3_jj: ; @_Z15sort_key_kernelILj512ELj2ELb1ELb0EhEvPT3_jj
; %bb.0:
	s_load_b128 s[16:19], s[0:1], 0x0
	v_and_b32_e32 v8, 0x3ff, v0
	s_lshl_b32 s2, s15, 10
	v_mbcnt_lo_u32_b32 v13, -1, 0
	v_bfe_u32 v19, v0, 10, 10
	v_bfe_u32 v20, v0, 20, 10
	v_lshlrev_b32_e32 v1, 1, v8
	v_lshlrev_b32_e32 v14, 5, v8
	;; [unrolled: 1-line block ×3, first 2 shown]
	v_and_b32_e32 v3, 1, v13
	v_and_b32_e32 v16, 15, v13
	v_add_nc_u32_e32 v15, -1, v13
	v_cmp_eq_u32_e64 s3, 0, v13
	v_and_b32_e32 v21, 60, v4
	v_and_b32_e32 v18, 0x3e0, v8
	v_cmp_gt_u32_e64 s4, 16, v8
	v_cmp_lt_u32_e64 s5, 31, v8
	v_lshrrev_b32_e32 v17, 3, v8
	v_or_b32_e32 v22, 64, v21
	s_mov_b32 s12, 0
	s_waitcnt lgkmcnt(0)
	s_add_u32 s14, s16, s2
	s_addc_u32 s15, s17, 0
	s_cmp_lg_u32 s18, 0
	global_load_u16 v2, v1, s[14:15]
	s_cselect_b32 s6, -1, 0
	s_cmp_lg_u32 s19, 8
	v_cmp_eq_u32_e64 s2, 0, v3
	s_cselect_b32 s7, -1, 0
	s_delay_alu instid0(SALU_CYCLE_1) | instskip(NEXT) | instid1(SALU_CYCLE_1)
	s_or_b32 s6, s6, s7
	s_and_b32 vcc_lo, exec_lo, s6
	s_mov_b32 s6, -1
	s_waitcnt vmcnt(0)
	v_lshrrev_b16 v0, 8, v2
	v_and_b32_e32 v24, 0xff, v2
	s_delay_alu instid0(VALU_DEP_2)
	v_and_b32_e32 v23, 0xffff, v0
	s_cbranch_vccz .LBB4_16
; %bb.1:
	ds_bpermute_b32 v0, v21, v24
	ds_bpermute_b32 v2, v21, v23
	;; [unrolled: 1-line block ×4, first 2 shown]
	s_waitcnt lgkmcnt(0)
	s_barrier
	buffer_gl0_inv
	s_load_b32 s11, s[0:1], 0x1c
	v_cmp_gt_i32_e32 vcc_lo, 0, v15
	s_mov_b32 s13, s12
	v_and_or_b32 v27, 0x7c0, v1, v13
	v_min_u32_e32 v6, 0x1e0, v18
	v_mul_i32_i24_e32 v31, 0xffffffe4, v8
	s_mov_b32 s16, s12
	s_mov_b32 s17, s12
	v_and_b32_e32 v5, 16, v13
	v_dual_mov_b32 v11, s16 :: v_dual_and_b32 v26, 0x7c, v17
	v_add_nc_u32_e32 v25, 64, v14
	v_cmp_eq_u32_e64 s6, 0, v16
	v_dual_cndmask_b32 v7, v15, v13 :: v_dual_and_b32 v0, 0xff, v0
	v_dual_mov_b32 v9, s12 :: v_dual_and_b32 v2, 0xff, v2
	v_lshlrev_b16 v3, 8, v3
	v_lshlrev_b16 v1, 8, v4
	v_cmp_lt_u32_e64 s7, 1, v16
	s_delay_alu instid0(VALU_DEP_4)
	v_cndmask_b32_e64 v0, v2, v0, s2
	s_waitcnt lgkmcnt(0)
	s_lshr_b32 s20, s11, 16
	s_and_b32 s11, s11, 0xffff
	v_cmp_lt_u32_e64 s8, 3, v16
	v_cmp_lt_u32_e64 s9, 7, v16
	v_or_b32_e32 v3, v0, v3
	v_cmp_eq_u32_e64 s10, 0, v8
	v_mov_b32_e32 v10, s13
	v_mov_b32_e32 v12, s17
	v_lshlrev_b32_e32 v28, 2, v7
	v_cndmask_b32_e64 v0, v2, v3, s2
	v_mad_u32_u24 v2, v20, s20, v19
	v_add_nc_u32_e32 v29, -4, v26
	v_add_nc_u32_e32 v31, v14, v31
	s_sub_i32 s16, s19, s18
	v_and_b32_e32 v0, 0xff, v0
	s_delay_alu instid0(VALU_DEP_1) | instskip(SKIP_3) | instid1(VALU_DEP_4)
	v_or_b32_e32 v4, v0, v1
	v_mad_u64_u32 v[0:1], null, v2, s11, v[8:9]
	v_or_b32_e32 v1, 31, v6
	v_cmp_eq_u32_e64 s11, 0, v5
	v_cndmask_b32_e64 v2, v4, v3, s2
	s_delay_alu instid0(VALU_DEP_3) | instskip(SKIP_1) | instid1(VALU_DEP_3)
	v_cmp_eq_u32_e64 s12, v1, v8
	v_lshrrev_b32_e32 v30, 5, v0
	v_and_b32_e32 v32, 0xffff, v2
	s_branch .LBB4_3
.LBB4_2:                                ;   in Loop: Header=BB4_3 Depth=1
	v_add_nc_u32_e32 v4, v2, v33
	s_delay_alu instid0(VALU_DEP_2)
	v_add_nc_u32_e32 v5, v3, v1
	s_barrier
	buffer_gl0_inv
	s_add_i32 s16, s16, -8
	ds_store_b8 v4, v32
	ds_store_b8 v5, v34
	s_waitcnt lgkmcnt(0)
	s_barrier
	buffer_gl0_inv
	ds_load_u8 v4, v27 offset:32
	ds_load_u8 v5, v27
	s_waitcnt lgkmcnt(0)
	s_barrier
	buffer_gl0_inv
	v_lshlrev_b16 v4, 8, v4
	s_delay_alu instid0(VALU_DEP_1) | instskip(NEXT) | instid1(VALU_DEP_1)
	v_or_b32_e32 v4, v5, v4
	v_and_b32_e32 v32, 0xffff, v4
	s_cbranch_execz .LBB4_15
.LBB4_3:                                ; =>This Inner Loop Header: Depth=1
	s_delay_alu instid0(VALU_DEP_1)
	v_and_b32_e32 v0, 0xff, v32
	s_min_u32 s13, s16, 8
	ds_store_2addr_b64 v14, v[9:10], v[11:12] offset0:8 offset1:9
	ds_store_2addr_b64 v25, v[9:10], v[11:12] offset0:2 offset1:3
	s_lshl_b32 s13, -1, s13
	s_waitcnt lgkmcnt(0)
	v_lshrrev_b32_e32 v0, s18, v0
	s_not_b32 s17, s13
	s_barrier
	buffer_gl0_inv
	v_and_b32_e32 v1, s17, v0
	; wave barrier
	s_delay_alu instid0(VALU_DEP_1)
	v_and_b32_e32 v0, 1, v1
	v_lshlrev_b32_e32 v2, 30, v1
	v_lshlrev_b32_e32 v3, 29, v1
	;; [unrolled: 1-line block ×4, first 2 shown]
	v_add_co_u32 v0, s13, v0, -1
	s_delay_alu instid0(VALU_DEP_1)
	v_cndmask_b32_e64 v5, 0, 1, s13
	v_not_b32_e32 v34, v2
	v_cmp_gt_i32_e64 s13, 0, v2
	v_not_b32_e32 v2, v3
	v_lshlrev_b32_e32 v7, 26, v1
	v_cmp_ne_u32_e32 vcc_lo, 0, v5
	v_ashrrev_i32_e32 v34, 31, v34
	v_lshlrev_b32_e32 v33, 25, v1
	v_ashrrev_i32_e32 v2, 31, v2
	v_lshlrev_b32_e32 v5, 24, v1
	v_xor_b32_e32 v0, vcc_lo, v0
	v_cmp_gt_i32_e32 vcc_lo, 0, v3
	v_not_b32_e32 v3, v4
	v_xor_b32_e32 v34, s13, v34
	v_cmp_gt_i32_e64 s13, 0, v4
	v_and_b32_e32 v0, exec_lo, v0
	v_not_b32_e32 v4, v6
	v_ashrrev_i32_e32 v3, 31, v3
	v_xor_b32_e32 v2, vcc_lo, v2
	v_cmp_gt_i32_e32 vcc_lo, 0, v6
	v_and_b32_e32 v0, v0, v34
	v_not_b32_e32 v6, v7
	v_ashrrev_i32_e32 v4, 31, v4
	v_xor_b32_e32 v3, s13, v3
	v_cmp_gt_i32_e64 s13, 0, v7
	v_and_b32_e32 v0, v0, v2
	v_not_b32_e32 v2, v33
	v_ashrrev_i32_e32 v6, 31, v6
	v_xor_b32_e32 v4, vcc_lo, v4
	v_cmp_gt_i32_e32 vcc_lo, 0, v33
	v_and_b32_e32 v0, v0, v3
	v_not_b32_e32 v3, v5
	v_ashrrev_i32_e32 v2, 31, v2
	v_xor_b32_e32 v6, s13, v6
	v_cmp_gt_i32_e64 s13, 0, v5
	v_and_b32_e32 v0, v0, v4
	v_ashrrev_i32_e32 v3, 31, v3
	v_xor_b32_e32 v2, vcc_lo, v2
	v_lshl_add_u32 v1, v1, 4, v30
	s_delay_alu instid0(VALU_DEP_4) | instskip(NEXT) | instid1(VALU_DEP_4)
	v_and_b32_e32 v0, v0, v6
	v_xor_b32_e32 v3, s13, v3
	s_delay_alu instid0(VALU_DEP_3) | instskip(NEXT) | instid1(VALU_DEP_3)
	v_lshl_add_u32 v35, v1, 2, 64
	v_and_b32_e32 v0, v0, v2
	s_delay_alu instid0(VALU_DEP_1) | instskip(NEXT) | instid1(VALU_DEP_1)
	v_and_b32_e32 v0, v0, v3
	v_mbcnt_lo_u32_b32 v33, v0, 0
	v_cmp_ne_u32_e64 s13, 0, v0
	s_delay_alu instid0(VALU_DEP_2) | instskip(NEXT) | instid1(VALU_DEP_2)
	v_cmp_eq_u32_e32 vcc_lo, 0, v33
	s_and_b32 s20, s13, vcc_lo
	s_delay_alu instid0(SALU_CYCLE_1)
	s_and_saveexec_b32 s13, s20
	s_cbranch_execz .LBB4_5
; %bb.4:                                ;   in Loop: Header=BB4_3 Depth=1
	v_bcnt_u32_b32 v0, v0, 0
	ds_store_b32 v35, v0
.LBB4_5:                                ;   in Loop: Header=BB4_3 Depth=1
	s_or_b32 exec_lo, exec_lo, s13
	v_lshrrev_b16 v34, 8, v32
	; wave barrier
	s_delay_alu instid0(VALU_DEP_1) | instskip(NEXT) | instid1(VALU_DEP_1)
	v_and_b32_e32 v0, 0xffff, v34
	v_lshrrev_b32_e32 v0, s18, v0
	s_delay_alu instid0(VALU_DEP_1) | instskip(NEXT) | instid1(VALU_DEP_1)
	v_and_b32_e32 v0, s17, v0
	v_and_b32_e32 v1, 1, v0
	v_lshlrev_b32_e32 v2, 30, v0
	v_lshlrev_b32_e32 v3, 29, v0
	;; [unrolled: 1-line block ×4, first 2 shown]
	v_add_co_u32 v1, s13, v1, -1
	s_delay_alu instid0(VALU_DEP_1)
	v_cndmask_b32_e64 v5, 0, 1, s13
	v_not_b32_e32 v37, v2
	v_cmp_gt_i32_e64 s13, 0, v2
	v_not_b32_e32 v2, v3
	v_lshlrev_b32_e32 v7, 26, v0
	v_cmp_ne_u32_e32 vcc_lo, 0, v5
	v_ashrrev_i32_e32 v37, 31, v37
	v_lshlrev_b32_e32 v36, 25, v0
	v_ashrrev_i32_e32 v2, 31, v2
	v_lshlrev_b32_e32 v5, 24, v0
	v_xor_b32_e32 v1, vcc_lo, v1
	v_cmp_gt_i32_e32 vcc_lo, 0, v3
	v_not_b32_e32 v3, v4
	v_xor_b32_e32 v37, s13, v37
	v_cmp_gt_i32_e64 s13, 0, v4
	v_and_b32_e32 v1, exec_lo, v1
	v_not_b32_e32 v4, v6
	v_ashrrev_i32_e32 v3, 31, v3
	v_xor_b32_e32 v2, vcc_lo, v2
	v_cmp_gt_i32_e32 vcc_lo, 0, v6
	v_and_b32_e32 v1, v1, v37
	v_not_b32_e32 v6, v7
	v_ashrrev_i32_e32 v4, 31, v4
	v_xor_b32_e32 v3, s13, v3
	v_cmp_gt_i32_e64 s13, 0, v7
	v_and_b32_e32 v1, v1, v2
	v_not_b32_e32 v2, v36
	v_ashrrev_i32_e32 v6, 31, v6
	v_xor_b32_e32 v4, vcc_lo, v4
	v_cmp_gt_i32_e32 vcc_lo, 0, v36
	v_and_b32_e32 v1, v1, v3
	v_not_b32_e32 v3, v5
	v_ashrrev_i32_e32 v2, 31, v2
	v_xor_b32_e32 v6, s13, v6
	v_lshlrev_b32_e32 v0, 4, v0
	v_and_b32_e32 v1, v1, v4
	v_cmp_gt_i32_e64 s13, 0, v5
	v_ashrrev_i32_e32 v3, 31, v3
	v_xor_b32_e32 v2, vcc_lo, v2
	v_add_lshl_u32 v4, v0, v30, 2
	v_and_b32_e32 v1, v1, v6
	s_delay_alu instid0(VALU_DEP_4) | instskip(SKIP_3) | instid1(VALU_DEP_2)
	v_xor_b32_e32 v0, s13, v3
	ds_load_b32 v36, v4 offset:64
	v_and_b32_e32 v1, v1, v2
	v_add_nc_u32_e32 v38, 64, v4
	; wave barrier
	v_and_b32_e32 v0, v1, v0
	s_delay_alu instid0(VALU_DEP_1) | instskip(SKIP_1) | instid1(VALU_DEP_2)
	v_mbcnt_lo_u32_b32 v37, v0, 0
	v_cmp_ne_u32_e64 s13, 0, v0
	v_cmp_eq_u32_e32 vcc_lo, 0, v37
	s_delay_alu instid0(VALU_DEP_2) | instskip(NEXT) | instid1(SALU_CYCLE_1)
	s_and_b32 s17, s13, vcc_lo
	s_and_saveexec_b32 s13, s17
	s_cbranch_execz .LBB4_7
; %bb.6:                                ;   in Loop: Header=BB4_3 Depth=1
	s_waitcnt lgkmcnt(0)
	v_bcnt_u32_b32 v0, v0, v36
	ds_store_b32 v38, v0
.LBB4_7:                                ;   in Loop: Header=BB4_3 Depth=1
	s_or_b32 exec_lo, exec_lo, s13
	; wave barrier
	s_waitcnt lgkmcnt(0)
	s_barrier
	buffer_gl0_inv
	ds_load_2addr_b64 v[4:7], v14 offset0:8 offset1:9
	ds_load_2addr_b64 v[0:3], v25 offset0:2 offset1:3
	s_waitcnt lgkmcnt(1)
	v_add_nc_u32_e32 v39, v5, v4
	s_delay_alu instid0(VALU_DEP_1) | instskip(SKIP_1) | instid1(VALU_DEP_1)
	v_add3_u32 v39, v39, v6, v7
	s_waitcnt lgkmcnt(0)
	v_add3_u32 v39, v39, v0, v1
	s_delay_alu instid0(VALU_DEP_1) | instskip(NEXT) | instid1(VALU_DEP_1)
	v_add3_u32 v3, v39, v2, v3
	v_mov_b32_dpp v39, v3 row_shr:1 row_mask:0xf bank_mask:0xf
	s_delay_alu instid0(VALU_DEP_1) | instskip(NEXT) | instid1(VALU_DEP_1)
	v_cndmask_b32_e64 v39, v39, 0, s6
	v_add_nc_u32_e32 v3, v39, v3
	s_delay_alu instid0(VALU_DEP_1) | instskip(NEXT) | instid1(VALU_DEP_1)
	v_mov_b32_dpp v39, v3 row_shr:2 row_mask:0xf bank_mask:0xf
	v_cndmask_b32_e64 v39, 0, v39, s7
	s_delay_alu instid0(VALU_DEP_1) | instskip(NEXT) | instid1(VALU_DEP_1)
	v_add_nc_u32_e32 v3, v3, v39
	v_mov_b32_dpp v39, v3 row_shr:4 row_mask:0xf bank_mask:0xf
	s_delay_alu instid0(VALU_DEP_1) | instskip(NEXT) | instid1(VALU_DEP_1)
	v_cndmask_b32_e64 v39, 0, v39, s8
	v_add_nc_u32_e32 v3, v3, v39
	s_delay_alu instid0(VALU_DEP_1) | instskip(NEXT) | instid1(VALU_DEP_1)
	v_mov_b32_dpp v39, v3 row_shr:8 row_mask:0xf bank_mask:0xf
	v_cndmask_b32_e64 v39, 0, v39, s9
	s_delay_alu instid0(VALU_DEP_1) | instskip(SKIP_3) | instid1(VALU_DEP_1)
	v_add_nc_u32_e32 v3, v3, v39
	ds_swizzle_b32 v39, v3 offset:swizzle(BROADCAST,32,15)
	s_waitcnt lgkmcnt(0)
	v_cndmask_b32_e64 v39, v39, 0, s11
	v_add_nc_u32_e32 v3, v3, v39
	s_and_saveexec_b32 s13, s12
	s_cbranch_execz .LBB4_9
; %bb.8:                                ;   in Loop: Header=BB4_3 Depth=1
	ds_store_b32 v26, v3
.LBB4_9:                                ;   in Loop: Header=BB4_3 Depth=1
	s_or_b32 exec_lo, exec_lo, s13
	s_waitcnt lgkmcnt(0)
	s_barrier
	buffer_gl0_inv
	s_and_saveexec_b32 s13, s4
	s_cbranch_execz .LBB4_11
; %bb.10:                               ;   in Loop: Header=BB4_3 Depth=1
	ds_load_b32 v39, v31
	s_waitcnt lgkmcnt(0)
	v_mov_b32_dpp v40, v39 row_shr:1 row_mask:0xf bank_mask:0xf
	s_delay_alu instid0(VALU_DEP_1) | instskip(NEXT) | instid1(VALU_DEP_1)
	v_cndmask_b32_e64 v40, v40, 0, s6
	v_add_nc_u32_e32 v39, v40, v39
	s_delay_alu instid0(VALU_DEP_1) | instskip(NEXT) | instid1(VALU_DEP_1)
	v_mov_b32_dpp v40, v39 row_shr:2 row_mask:0xf bank_mask:0xf
	v_cndmask_b32_e64 v40, 0, v40, s7
	s_delay_alu instid0(VALU_DEP_1) | instskip(NEXT) | instid1(VALU_DEP_1)
	v_add_nc_u32_e32 v39, v39, v40
	v_mov_b32_dpp v40, v39 row_shr:4 row_mask:0xf bank_mask:0xf
	s_delay_alu instid0(VALU_DEP_1) | instskip(NEXT) | instid1(VALU_DEP_1)
	v_cndmask_b32_e64 v40, 0, v40, s8
	v_add_nc_u32_e32 v39, v39, v40
	s_delay_alu instid0(VALU_DEP_1) | instskip(NEXT) | instid1(VALU_DEP_1)
	v_mov_b32_dpp v40, v39 row_shr:8 row_mask:0xf bank_mask:0xf
	v_cndmask_b32_e64 v40, 0, v40, s9
	s_delay_alu instid0(VALU_DEP_1)
	v_add_nc_u32_e32 v39, v39, v40
	ds_store_b32 v31, v39
.LBB4_11:                               ;   in Loop: Header=BB4_3 Depth=1
	s_or_b32 exec_lo, exec_lo, s13
	v_mov_b32_e32 v39, 0
	s_waitcnt lgkmcnt(0)
	s_barrier
	buffer_gl0_inv
	s_and_saveexec_b32 s13, s5
	s_cbranch_execz .LBB4_13
; %bb.12:                               ;   in Loop: Header=BB4_3 Depth=1
	ds_load_b32 v39, v29
.LBB4_13:                               ;   in Loop: Header=BB4_3 Depth=1
	s_or_b32 exec_lo, exec_lo, s13
	s_waitcnt lgkmcnt(0)
	v_add_nc_u32_e32 v3, v39, v3
	s_add_i32 s18, s18, 8
	s_delay_alu instid0(SALU_CYCLE_1) | instskip(SKIP_3) | instid1(VALU_DEP_1)
	s_cmp_ge_u32 s18, s19
	ds_bpermute_b32 v3, v28, v3
	s_waitcnt lgkmcnt(0)
	v_cndmask_b32_e64 v3, v3, v39, s3
	v_cndmask_b32_e64 v3, v3, 0, s10
	s_delay_alu instid0(VALU_DEP_1) | instskip(NEXT) | instid1(VALU_DEP_1)
	v_add_nc_u32_e32 v4, v3, v4
	v_add_nc_u32_e32 v5, v4, v5
	s_delay_alu instid0(VALU_DEP_1) | instskip(NEXT) | instid1(VALU_DEP_1)
	v_add_nc_u32_e32 v6, v5, v6
	v_add_nc_u32_e32 v39, v6, v7
	;; [unrolled: 3-line block ×3, first 2 shown]
	s_delay_alu instid0(VALU_DEP_1)
	v_add_nc_u32_e32 v1, v0, v2
	ds_store_2addr_b64 v14, v[3:4], v[5:6] offset0:8 offset1:9
	ds_store_2addr_b64 v25, v[39:40], v[0:1] offset0:2 offset1:3
	v_mov_b32_e32 v0, v32
	s_waitcnt lgkmcnt(0)
	s_barrier
	buffer_gl0_inv
	ds_load_b32 v2, v35
	ds_load_b32 v1, v38
	v_add_nc_u32_e32 v3, v37, v36
	s_waitcnt lgkmcnt(0)
	s_cbranch_scc0 .LBB4_2
; %bb.14:
                                        ; implicit-def: $vgpr32
                                        ; implicit-def: $sgpr16
.LBB4_15:
	v_add_nc_u32_e32 v2, v2, v33
	s_delay_alu instid0(VALU_DEP_2)
	v_add_nc_u32_e32 v1, v3, v1
	s_mov_b32 s6, 0
	s_barrier
	buffer_gl0_inv
	ds_store_b8 v2, v0
	ds_store_b8 v1, v34
	s_waitcnt lgkmcnt(0)
	s_barrier
.LBB4_16:
	s_and_b32 vcc_lo, exec_lo, s6
	s_cbranch_vccz .LBB4_28
; %bb.17:
	ds_bpermute_b32 v0, v21, v24
	ds_bpermute_b32 v1, v21, v23
	;; [unrolled: 1-line block ×4, first 2 shown]
	s_waitcnt lgkmcnt(0)
	s_barrier
	buffer_gl0_inv
	s_load_b32 s1, s[0:1], 0x1c
	v_and_b32_e32 v0, 0xff, v0
	v_and_b32_e32 v1, 0xff, v1
	v_lshlrev_b16 v2, 8, v2
	s_delay_alu instid0(VALU_DEP_2) | instskip(SKIP_2) | instid1(VALU_DEP_1)
	v_cndmask_b32_e64 v0, v1, v0, s2
	s_waitcnt lgkmcnt(0)
	s_lshr_b32 s6, s1, 16
	v_or_b32_e32 v0, v0, v2
	v_lshlrev_b16 v2, 8, v3
	s_delay_alu instid0(VALU_DEP_2) | instskip(NEXT) | instid1(VALU_DEP_1)
	v_cndmask_b32_e64 v1, v1, v0, s2
	v_and_b32_e32 v1, 0xff, v1
	s_delay_alu instid0(VALU_DEP_1) | instskip(NEXT) | instid1(VALU_DEP_1)
	v_or_b32_e32 v1, v1, v2
	v_cndmask_b32_e64 v9, v1, v0, s2
	s_mov_b32 s2, 0
	s_delay_alu instid0(SALU_CYCLE_1) | instskip(SKIP_1) | instid1(VALU_DEP_1)
	s_mov_b32 s4, s2
	s_mov_b32 s5, s2
	v_and_b32_e32 v0, 1, v9
	v_lshlrev_b32_e32 v1, 30, v9
	v_lshlrev_b32_e32 v2, 29, v9
	;; [unrolled: 1-line block ×4, first 2 shown]
	v_add_co_u32 v0, s0, v0, -1
	s_delay_alu instid0(VALU_DEP_1)
	v_cndmask_b32_e64 v4, 0, 1, s0
	v_not_b32_e32 v10, v1
	v_cmp_gt_i32_e64 s0, 0, v1
	v_not_b32_e32 v1, v2
	v_lshlrev_b32_e32 v6, 26, v9
	v_cmp_ne_u32_e32 vcc_lo, 0, v4
	v_ashrrev_i32_e32 v10, 31, v10
	v_lshlrev_b32_e32 v7, 25, v9
	v_ashrrev_i32_e32 v1, 31, v1
	v_lshlrev_b32_e32 v4, 24, v9
	v_xor_b32_e32 v0, vcc_lo, v0
	v_cmp_gt_i32_e32 vcc_lo, 0, v2
	v_not_b32_e32 v2, v3
	v_xor_b32_e32 v10, s0, v10
	v_cmp_gt_i32_e64 s0, 0, v3
	v_and_b32_e32 v0, exec_lo, v0
	v_not_b32_e32 v3, v5
	v_ashrrev_i32_e32 v2, 31, v2
	v_xor_b32_e32 v1, vcc_lo, v1
	v_cmp_gt_i32_e32 vcc_lo, 0, v5
	v_and_b32_e32 v0, v0, v10
	v_not_b32_e32 v5, v6
	v_ashrrev_i32_e32 v3, 31, v3
	v_xor_b32_e32 v2, s0, v2
	v_cmp_gt_i32_e64 s0, 0, v6
	v_and_b32_e32 v0, v0, v1
	v_not_b32_e32 v1, v7
	v_ashrrev_i32_e32 v5, 31, v5
	v_xor_b32_e32 v3, vcc_lo, v3
	v_cmp_gt_i32_e32 vcc_lo, 0, v7
	v_and_b32_e32 v0, v0, v2
	v_not_b32_e32 v2, v4
	v_ashrrev_i32_e32 v1, 31, v1
	v_xor_b32_e32 v5, s0, v5
	v_cmp_gt_i32_e64 s0, 0, v4
	v_and_b32_e32 v0, v0, v3
	v_ashrrev_i32_e32 v4, 31, v2
	v_xor_b32_e32 v1, vcc_lo, v1
	v_mad_u32_u24 v6, v20, s6, v19
	s_mov_b32 s3, s2
	v_and_b32_e32 v0, v0, v5
	v_xor_b32_e32 v7, s0, v4
	s_and_b32 s0, s1, 0xffff
	v_mov_b32_e32 v2, s2
	v_dual_mov_b32 v4, s4 :: v_dual_mov_b32 v5, s5
	v_and_b32_e32 v10, v0, v1
	v_mad_u64_u32 v[0:1], null, v6, s0, v[8:9]
	v_dual_mov_b32 v3, s3 :: v_dual_and_b32 v6, 0xff, v9
	s_delay_alu instid0(VALU_DEP_3)
	v_and_b32_e32 v1, v10, v7
	ds_store_2addr_b64 v14, v[2:3], v[4:5] offset0:8 offset1:9
	ds_store_2addr_b64 v14, v[2:3], v[4:5] offset0:10 offset1:11
	v_lshrrev_b32_e32 v0, 5, v0
	v_mbcnt_lo_u32_b32 v10, v1, 0
	v_lshlrev_b32_e32 v3, 4, v6
	v_cmp_ne_u32_e64 s0, 0, v1
	v_and_b32_e32 v2, 0xffff, v9
	s_waitcnt lgkmcnt(0)
	v_cmp_eq_u32_e32 vcc_lo, 0, v10
	v_add_lshl_u32 v11, v0, v3, 2
	s_barrier
	buffer_gl0_inv
	s_and_b32 s1, s0, vcc_lo
	; wave barrier
	s_delay_alu instid0(SALU_CYCLE_1)
	s_and_saveexec_b32 s0, s1
	s_cbranch_execz .LBB4_19
; %bb.18:
	v_bcnt_u32_b32 v1, v1, 0
	ds_store_b32 v11, v1 offset:64
.LBB4_19:
	s_or_b32 exec_lo, exec_lo, s0
	v_lshrrev_b16 v12, 8, v2
	; wave barrier
	v_add_nc_u32_e32 v22, 64, v14
	v_min_u32_e32 v18, 0x1e0, v18
	s_delay_alu instid0(VALU_DEP_3) | instskip(NEXT) | instid1(VALU_DEP_1)
	v_and_b32_e32 v1, 0xffff, v12
	v_and_b32_e32 v2, 1, v1
	v_lshlrev_b32_e32 v3, 30, v1
	v_lshlrev_b32_e32 v4, 29, v1
	;; [unrolled: 1-line block ×4, first 2 shown]
	v_add_co_u32 v2, s0, v2, -1
	s_delay_alu instid0(VALU_DEP_1)
	v_cndmask_b32_e64 v6, 0, 1, s0
	v_not_b32_e32 v21, v3
	v_cmp_gt_i32_e64 s0, 0, v3
	v_not_b32_e32 v3, v4
	v_lshlrev_b32_e32 v19, 26, v1
	v_cmp_ne_u32_e32 vcc_lo, 0, v6
	v_ashrrev_i32_e32 v21, 31, v21
	v_lshlrev_b32_e32 v20, 25, v1
	v_ashrrev_i32_e32 v3, 31, v3
	v_lshlrev_b32_e32 v6, 24, v1
	v_xor_b32_e32 v2, vcc_lo, v2
	v_cmp_gt_i32_e32 vcc_lo, 0, v4
	v_not_b32_e32 v4, v5
	v_xor_b32_e32 v21, s0, v21
	v_cmp_gt_i32_e64 s0, 0, v5
	v_and_b32_e32 v2, exec_lo, v2
	v_not_b32_e32 v5, v7
	v_ashrrev_i32_e32 v4, 31, v4
	v_xor_b32_e32 v3, vcc_lo, v3
	v_cmp_gt_i32_e32 vcc_lo, 0, v7
	v_and_b32_e32 v2, v2, v21
	v_not_b32_e32 v7, v19
	v_ashrrev_i32_e32 v5, 31, v5
	v_xor_b32_e32 v4, s0, v4
	v_cmp_gt_i32_e64 s0, 0, v19
	v_and_b32_e32 v2, v2, v3
	v_not_b32_e32 v3, v20
	v_ashrrev_i32_e32 v7, 31, v7
	v_xor_b32_e32 v5, vcc_lo, v5
	v_cmp_gt_i32_e32 vcc_lo, 0, v20
	v_and_b32_e32 v2, v2, v4
	v_not_b32_e32 v4, v6
	v_ashrrev_i32_e32 v3, 31, v3
	v_xor_b32_e32 v7, s0, v7
	v_lshlrev_b32_e32 v1, 4, v1
	v_and_b32_e32 v2, v2, v5
	v_cmp_gt_i32_e64 s0, 0, v6
	v_ashrrev_i32_e32 v4, 31, v4
	v_xor_b32_e32 v3, vcc_lo, v3
	v_add_lshl_u32 v19, v0, v1, 2
	v_and_b32_e32 v2, v2, v7
	s_delay_alu instid0(VALU_DEP_4) | instskip(SKIP_2) | instid1(VALU_DEP_1)
	v_xor_b32_e32 v0, s0, v4
	ds_load_b32 v20, v19 offset:64
	v_and_b32_e32 v1, v2, v3
	; wave barrier
	v_and_b32_e32 v0, v1, v0
	s_delay_alu instid0(VALU_DEP_1) | instskip(SKIP_1) | instid1(VALU_DEP_2)
	v_mbcnt_lo_u32_b32 v21, v0, 0
	v_cmp_ne_u32_e64 s0, 0, v0
	v_cmp_eq_u32_e32 vcc_lo, 0, v21
	s_delay_alu instid0(VALU_DEP_2) | instskip(NEXT) | instid1(SALU_CYCLE_1)
	s_and_b32 s1, s0, vcc_lo
	s_and_saveexec_b32 s0, s1
	s_cbranch_execz .LBB4_21
; %bb.20:
	s_waitcnt lgkmcnt(0)
	v_bcnt_u32_b32 v0, v0, v20
	ds_store_b32 v19, v0 offset:64
.LBB4_21:
	s_or_b32 exec_lo, exec_lo, s0
	; wave barrier
	s_waitcnt lgkmcnt(0)
	s_barrier
	buffer_gl0_inv
	ds_load_2addr_b64 v[4:7], v14 offset0:8 offset1:9
	ds_load_2addr_b64 v[0:3], v22 offset0:2 offset1:3
	v_cmp_eq_u32_e32 vcc_lo, 0, v16
	v_cmp_lt_u32_e64 s0, 1, v16
	v_cmp_lt_u32_e64 s1, 3, v16
	;; [unrolled: 1-line block ×3, first 2 shown]
	v_or_b32_e32 v18, 31, v18
	s_mov_b32 s4, exec_lo
	s_waitcnt lgkmcnt(1)
	v_add_nc_u32_e32 v23, v5, v4
	s_delay_alu instid0(VALU_DEP_1) | instskip(SKIP_1) | instid1(VALU_DEP_1)
	v_add3_u32 v23, v23, v6, v7
	s_waitcnt lgkmcnt(0)
	v_add3_u32 v23, v23, v0, v1
	s_delay_alu instid0(VALU_DEP_1) | instskip(NEXT) | instid1(VALU_DEP_1)
	v_add3_u32 v3, v23, v2, v3
	v_mov_b32_dpp v23, v3 row_shr:1 row_mask:0xf bank_mask:0xf
	s_delay_alu instid0(VALU_DEP_1) | instskip(NEXT) | instid1(VALU_DEP_1)
	v_cndmask_b32_e64 v23, v23, 0, vcc_lo
	v_add_nc_u32_e32 v3, v23, v3
	s_delay_alu instid0(VALU_DEP_1) | instskip(NEXT) | instid1(VALU_DEP_1)
	v_mov_b32_dpp v23, v3 row_shr:2 row_mask:0xf bank_mask:0xf
	v_cndmask_b32_e64 v23, 0, v23, s0
	s_delay_alu instid0(VALU_DEP_1) | instskip(NEXT) | instid1(VALU_DEP_1)
	v_add_nc_u32_e32 v3, v3, v23
	v_mov_b32_dpp v23, v3 row_shr:4 row_mask:0xf bank_mask:0xf
	s_delay_alu instid0(VALU_DEP_1) | instskip(NEXT) | instid1(VALU_DEP_1)
	v_cndmask_b32_e64 v23, 0, v23, s1
	v_add_nc_u32_e32 v3, v3, v23
	s_delay_alu instid0(VALU_DEP_1) | instskip(NEXT) | instid1(VALU_DEP_1)
	v_mov_b32_dpp v23, v3 row_shr:8 row_mask:0xf bank_mask:0xf
	v_cndmask_b32_e64 v16, 0, v23, s2
	v_bfe_i32 v23, v13, 4, 1
	s_delay_alu instid0(VALU_DEP_2) | instskip(SKIP_4) | instid1(VALU_DEP_2)
	v_add_nc_u32_e32 v3, v3, v16
	ds_swizzle_b32 v16, v3 offset:swizzle(BROADCAST,32,15)
	s_waitcnt lgkmcnt(0)
	v_and_b32_e32 v23, v23, v16
	v_and_b32_e32 v16, 0x7c, v17
	v_add_nc_u32_e32 v3, v3, v23
	v_cmpx_eq_u32_e64 v18, v8
	s_cbranch_execz .LBB4_23
; %bb.22:
	ds_store_b32 v16, v3
.LBB4_23:
	s_or_b32 exec_lo, exec_lo, s4
	s_delay_alu instid0(SALU_CYCLE_1)
	s_mov_b32 s4, exec_lo
	s_waitcnt lgkmcnt(0)
	s_barrier
	buffer_gl0_inv
	v_cmpx_gt_u32_e32 16, v8
	s_cbranch_execz .LBB4_25
; %bb.24:
	v_mul_i32_i24_e32 v17, 0xffffffe4, v8
	s_delay_alu instid0(VALU_DEP_1) | instskip(SKIP_3) | instid1(VALU_DEP_1)
	v_add_nc_u32_e32 v17, v14, v17
	ds_load_b32 v18, v17
	s_waitcnt lgkmcnt(0)
	v_mov_b32_dpp v23, v18 row_shr:1 row_mask:0xf bank_mask:0xf
	v_cndmask_b32_e64 v23, v23, 0, vcc_lo
	s_delay_alu instid0(VALU_DEP_1) | instskip(NEXT) | instid1(VALU_DEP_1)
	v_add_nc_u32_e32 v18, v23, v18
	v_mov_b32_dpp v23, v18 row_shr:2 row_mask:0xf bank_mask:0xf
	s_delay_alu instid0(VALU_DEP_1) | instskip(NEXT) | instid1(VALU_DEP_1)
	v_cndmask_b32_e64 v23, 0, v23, s0
	v_add_nc_u32_e32 v18, v18, v23
	s_delay_alu instid0(VALU_DEP_1) | instskip(NEXT) | instid1(VALU_DEP_1)
	v_mov_b32_dpp v23, v18 row_shr:4 row_mask:0xf bank_mask:0xf
	v_cndmask_b32_e64 v23, 0, v23, s1
	s_delay_alu instid0(VALU_DEP_1) | instskip(NEXT) | instid1(VALU_DEP_1)
	v_add_nc_u32_e32 v18, v18, v23
	v_mov_b32_dpp v23, v18 row_shr:8 row_mask:0xf bank_mask:0xf
	s_delay_alu instid0(VALU_DEP_1) | instskip(NEXT) | instid1(VALU_DEP_1)
	v_cndmask_b32_e64 v23, 0, v23, s2
	v_add_nc_u32_e32 v18, v18, v23
	ds_store_b32 v17, v18
.LBB4_25:
	s_or_b32 exec_lo, exec_lo, s4
	v_mov_b32_e32 v17, 0
	s_mov_b32 s0, exec_lo
	s_waitcnt lgkmcnt(0)
	s_barrier
	buffer_gl0_inv
	v_cmpx_lt_u32_e32 31, v8
	s_cbranch_execz .LBB4_27
; %bb.26:
	v_add_nc_u32_e32 v16, -4, v16
	ds_load_b32 v17, v16
.LBB4_27:
	s_or_b32 exec_lo, exec_lo, s0
	v_cmp_gt_i32_e32 vcc_lo, 0, v15
	s_waitcnt lgkmcnt(0)
	v_add_nc_u32_e32 v3, v17, v3
	v_cndmask_b32_e32 v15, v15, v13, vcc_lo
	v_cmp_eq_u32_e32 vcc_lo, 0, v13
	s_delay_alu instid0(VALU_DEP_2) | instskip(SKIP_4) | instid1(VALU_DEP_2)
	v_lshlrev_b32_e32 v15, 2, v15
	ds_bpermute_b32 v3, v15, v3
	s_waitcnt lgkmcnt(0)
	v_cndmask_b32_e32 v3, v3, v17, vcc_lo
	v_cmp_ne_u32_e32 vcc_lo, 0, v8
	v_cndmask_b32_e32 v3, 0, v3, vcc_lo
	s_delay_alu instid0(VALU_DEP_1) | instskip(NEXT) | instid1(VALU_DEP_1)
	v_add_nc_u32_e32 v4, v3, v4
	v_add_nc_u32_e32 v5, v4, v5
	s_delay_alu instid0(VALU_DEP_1) | instskip(NEXT) | instid1(VALU_DEP_1)
	v_add_nc_u32_e32 v6, v5, v6
	v_add_nc_u32_e32 v15, v6, v7
	;; [unrolled: 3-line block ×3, first 2 shown]
	s_delay_alu instid0(VALU_DEP_1)
	v_add_nc_u32_e32 v1, v0, v2
	ds_store_2addr_b64 v14, v[3:4], v[5:6] offset0:8 offset1:9
	ds_store_2addr_b64 v22, v[15:16], v[0:1] offset0:2 offset1:3
	s_waitcnt lgkmcnt(0)
	s_barrier
	buffer_gl0_inv
	ds_load_b32 v0, v11 offset:64
	ds_load_b32 v1, v19 offset:64
	s_waitcnt lgkmcnt(0)
	s_barrier
	buffer_gl0_inv
	v_add_nc_u32_e32 v0, v0, v10
	v_add3_u32 v1, v21, v20, v1
	ds_store_b8 v0, v9
	ds_store_b8 v1, v12
	s_waitcnt lgkmcnt(0)
	s_barrier
.LBB4_28:
	buffer_gl0_inv
	ds_load_u8 v0, v8
	ds_load_u8 v1, v8 offset:512
	s_waitcnt lgkmcnt(1)
	global_store_b8 v8, v0, s[14:15]
	s_waitcnt lgkmcnt(0)
	global_store_b8 v8, v1, s[14:15] offset:512
	s_nop 0
	s_sendmsg sendmsg(MSG_DEALLOC_VGPRS)
	s_endpgm
	.section	.rodata,"a",@progbits
	.p2align	6, 0x0
	.amdhsa_kernel _Z15sort_key_kernelILj512ELj2ELb1ELb0EhEvPT3_jj
		.amdhsa_group_segment_fixed_size 16448
		.amdhsa_private_segment_fixed_size 0
		.amdhsa_kernarg_size 272
		.amdhsa_user_sgpr_count 15
		.amdhsa_user_sgpr_dispatch_ptr 0
		.amdhsa_user_sgpr_queue_ptr 0
		.amdhsa_user_sgpr_kernarg_segment_ptr 1
		.amdhsa_user_sgpr_dispatch_id 0
		.amdhsa_user_sgpr_private_segment_size 0
		.amdhsa_wavefront_size32 1
		.amdhsa_uses_dynamic_stack 0
		.amdhsa_enable_private_segment 0
		.amdhsa_system_sgpr_workgroup_id_x 1
		.amdhsa_system_sgpr_workgroup_id_y 0
		.amdhsa_system_sgpr_workgroup_id_z 0
		.amdhsa_system_sgpr_workgroup_info 0
		.amdhsa_system_vgpr_workitem_id 2
		.amdhsa_next_free_vgpr 41
		.amdhsa_next_free_sgpr 21
		.amdhsa_reserve_vcc 1
		.amdhsa_float_round_mode_32 0
		.amdhsa_float_round_mode_16_64 0
		.amdhsa_float_denorm_mode_32 3
		.amdhsa_float_denorm_mode_16_64 3
		.amdhsa_dx10_clamp 1
		.amdhsa_ieee_mode 1
		.amdhsa_fp16_overflow 0
		.amdhsa_workgroup_processor_mode 1
		.amdhsa_memory_ordered 1
		.amdhsa_forward_progress 0
		.amdhsa_shared_vgpr_count 0
		.amdhsa_exception_fp_ieee_invalid_op 0
		.amdhsa_exception_fp_denorm_src 0
		.amdhsa_exception_fp_ieee_div_zero 0
		.amdhsa_exception_fp_ieee_overflow 0
		.amdhsa_exception_fp_ieee_underflow 0
		.amdhsa_exception_fp_ieee_inexact 0
		.amdhsa_exception_int_div_zero 0
	.end_amdhsa_kernel
	.section	.text._Z15sort_key_kernelILj512ELj2ELb1ELb0EhEvPT3_jj,"axG",@progbits,_Z15sort_key_kernelILj512ELj2ELb1ELb0EhEvPT3_jj,comdat
.Lfunc_end4:
	.size	_Z15sort_key_kernelILj512ELj2ELb1ELb0EhEvPT3_jj, .Lfunc_end4-_Z15sort_key_kernelILj512ELj2ELb1ELb0EhEvPT3_jj
                                        ; -- End function
	.section	.AMDGPU.csdata,"",@progbits
; Kernel info:
; codeLenInByte = 3672
; NumSgprs: 23
; NumVgprs: 41
; ScratchSize: 0
; MemoryBound: 0
; FloatMode: 240
; IeeeMode: 1
; LDSByteSize: 16448 bytes/workgroup (compile time only)
; SGPRBlocks: 2
; VGPRBlocks: 5
; NumSGPRsForWavesPerEU: 23
; NumVGPRsForWavesPerEU: 41
; Occupancy: 16
; WaveLimiterHint : 1
; COMPUTE_PGM_RSRC2:SCRATCH_EN: 0
; COMPUTE_PGM_RSRC2:USER_SGPR: 15
; COMPUTE_PGM_RSRC2:TRAP_HANDLER: 0
; COMPUTE_PGM_RSRC2:TGID_X_EN: 1
; COMPUTE_PGM_RSRC2:TGID_Y_EN: 0
; COMPUTE_PGM_RSRC2:TGID_Z_EN: 0
; COMPUTE_PGM_RSRC2:TIDIG_COMP_CNT: 2
	.section	.text._Z15sort_key_kernelILj162ELj2ELb1ELb1EjEvPT3_jj,"axG",@progbits,_Z15sort_key_kernelILj162ELj2ELb1ELb1EjEvPT3_jj,comdat
	.protected	_Z15sort_key_kernelILj162ELj2ELb1ELb1EjEvPT3_jj ; -- Begin function _Z15sort_key_kernelILj162ELj2ELb1ELb1EjEvPT3_jj
	.globl	_Z15sort_key_kernelILj162ELj2ELb1ELb1EjEvPT3_jj
	.p2align	8
	.type	_Z15sort_key_kernelILj162ELj2ELb1ELb1EjEvPT3_jj,@function
_Z15sort_key_kernelILj162ELj2ELb1ELb1EjEvPT3_jj: ; @_Z15sort_key_kernelILj162ELj2ELb1ELb1EjEvPT3_jj
; %bb.0:
	s_load_b128 s[16:19], s[0:1], 0x0
	s_mov_b32 s1, 0
	s_mul_i32 s0, s15, 0x144
	v_lshlrev_b32_e32 v1, 3, v0
	s_lshl_b64 s[0:1], s[0:1], 2
	v_mbcnt_lo_u32_b32 v3, -1, 0
	v_lshlrev_b32_e32 v11, 5, v0
	v_lshrrev_b32_e32 v8, 3, v0
	v_lshlrev_b32_e32 v12, 2, v0
	v_cmp_gt_u32_e64 s12, 0x3cc, v0
	v_add_nc_u32_e32 v7, -1, v3
	v_and_b32_e32 v4, 15, v3
	v_and_b32_e32 v5, 16, v3
	v_cmp_eq_u32_e64 s2, 0, v3
	v_and_b32_e32 v9, 7, v3
	v_cmp_gt_i32_e32 vcc_lo, 0, v7
	v_and_b32_e32 v6, 0xe0, v0
	v_cmp_eq_u32_e64 s3, 0, v4
	v_cmp_lt_u32_e64 s4, 1, v4
	v_cmp_lt_u32_e64 s5, 3, v4
	v_cndmask_b32_e32 v3, v7, v3, vcc_lo
	s_waitcnt lgkmcnt(0)
	s_add_u32 s20, s16, s0
	s_addc_u32 s21, s17, s1
	v_cmp_lt_u32_e64 s6, 7, v4
	global_load_b64 v[1:2], v1, s[20:21]
	v_min_u32_e32 v4, 0x82, v6
	s_cmp_eq_u32 s18, 0
	v_mad_i32_i24 v14, 0xffffffe4, v0, v11
	s_cselect_b32 s11, -1, 0
	s_cmp_eq_u32 s19, 32
	v_add_nc_u32_e32 v4, 31, v4
	s_cselect_b32 s17, -1, 0
	v_cmp_gt_u32_e64 s0, 6, v0
	s_and_b32 s17, s11, s17
	v_cmp_lt_u32_e64 s1, 31, v0
	v_cmp_gt_u32_e64 s13, 0x32a, v0
	v_cmp_gt_u32_e64 s14, 0x288, v0
	;; [unrolled: 1-line block ×4, first 2 shown]
	v_cmp_eq_u32_e64 s7, 0, v5
	v_and_b32_e32 v13, 28, v8
	v_cmp_eq_u32_e64 s8, 0, v9
	v_cmp_lt_u32_e64 s9, 1, v9
	v_cmp_lt_u32_e64 s10, 3, v9
	v_lshlrev_b32_e32 v15, 2, v3
	v_add_nc_u32_e32 v16, v14, v12
	v_cmp_eq_u32_e64 s11, v4, v0
	s_and_b32 vcc_lo, exec_lo, s17
	v_cmp_gt_u32_e64 s17, 0xa2, v0
	s_mov_b32 s22, -1
	s_waitcnt vmcnt(0)
	v_not_b32_e32 v9, v1
	v_not_b32_e32 v10, v2
	s_cbranch_vccnz .LBB5_19
; %bb.1:
	s_delay_alu instid0(VALU_DEP_1) | instskip(NEXT) | instid1(VALU_DEP_3)
	v_dual_mov_b32 v17, 0 :: v_dual_mov_b32 v2, v10
	v_mov_b32_e32 v1, v9
	s_sub_i32 s22, s19, s18
	s_branch .LBB5_3
.LBB5_2:                                ;   in Loop: Header=BB5_3 Depth=1
	s_barrier
	buffer_gl0_inv
	ds_store_b32 v3, v19
	ds_store_b32 v4, v18
	s_waitcnt lgkmcnt(0)
	s_barrier
	buffer_gl0_inv
	ds_load_b64 v[1:2], v16
	s_add_i32 s22, s22, -4
	s_waitcnt lgkmcnt(0)
	s_barrier
	buffer_gl0_inv
	s_cbranch_execz .LBB5_18
.LBB5_3:                                ; =>This Inner Loop Header: Depth=1
	s_delay_alu instid0(VALU_DEP_1)
	v_dual_mov_b32 v18, v2 :: v_dual_mov_b32 v19, v1
	ds_store_2addr_b32 v12, v17, v17 offset1:162
	s_and_saveexec_b32 s23, s12
	s_cbranch_execz .LBB5_10
; %bb.4:                                ;   in Loop: Header=BB5_3 Depth=1
	ds_store_b32 v12, v17 offset:1296
	s_and_b32 exec_lo, exec_lo, s13
	s_cbranch_execz .LBB5_10
; %bb.5:                                ;   in Loop: Header=BB5_3 Depth=1
	ds_store_b32 v12, v17 offset:1944
	s_and_b32 exec_lo, exec_lo, s14
	;; [unrolled: 4-line block ×5, first 2 shown]
	s_cbranch_execz .LBB5_10
; %bb.9:                                ;   in Loop: Header=BB5_3 Depth=1
	ds_store_b32 v12, v17 offset:4536
.LBB5_10:                               ;   in Loop: Header=BB5_3 Depth=1
	s_or_b32 exec_lo, exec_lo, s23
	s_min_u32 s23, s22, 4
	v_lshrrev_b32_e32 v1, s18, v19
	s_lshl_b32 s23, -1, s23
	s_delay_alu instid0(SALU_CYCLE_1)
	s_not_b32 s23, s23
	s_delay_alu instid0(VALU_DEP_1) | instid1(SALU_CYCLE_1)
	v_and_b32_e32 v1, s23, v1
	s_delay_alu instid0(VALU_DEP_1) | instskip(SKIP_1) | instid1(VALU_DEP_2)
	v_and_b32_e32 v2, 7, v1
	v_lshrrev_b32_e32 v1, 3, v1
	v_mul_u32_u24_e32 v2, 0xa2, v2
	s_delay_alu instid0(VALU_DEP_1) | instskip(NEXT) | instid1(VALU_DEP_1)
	v_add_lshl_u32 v2, v2, v0, 1
	v_add_lshl_u32 v20, v2, v1, 1
	v_lshrrev_b32_e32 v1, s18, v18
	ds_load_u16 v21, v20
	v_and_b32_e32 v1, s23, v1
	s_delay_alu instid0(VALU_DEP_1) | instskip(SKIP_1) | instid1(VALU_DEP_2)
	v_and_b32_e32 v2, 7, v1
	v_lshrrev_b32_e32 v1, 3, v1
	v_mul_u32_u24_e32 v2, 0xa2, v2
	s_delay_alu instid0(VALU_DEP_1) | instskip(SKIP_2) | instid1(VALU_DEP_2)
	v_add_lshl_u32 v2, v2, v0, 1
	s_waitcnt lgkmcnt(0)
	v_add_nc_u16 v3, v21, 1
	v_add_lshl_u32 v22, v2, v1, 1
	ds_store_b16 v20, v3
	ds_load_u16 v23, v22
	s_waitcnt lgkmcnt(0)
	v_add_nc_u16 v1, v23, 1
	ds_store_b16 v22, v1
	s_waitcnt lgkmcnt(0)
	s_barrier
	buffer_gl0_inv
	ds_load_2addr_b64 v[5:8], v11 offset1:1
	ds_load_2addr_b64 v[1:4], v11 offset0:2 offset1:3
	s_waitcnt lgkmcnt(1)
	v_add_nc_u32_e32 v24, v6, v5
	s_delay_alu instid0(VALU_DEP_1) | instskip(SKIP_1) | instid1(VALU_DEP_1)
	v_add3_u32 v24, v24, v7, v8
	s_waitcnt lgkmcnt(0)
	v_add3_u32 v24, v24, v1, v2
	s_delay_alu instid0(VALU_DEP_1) | instskip(NEXT) | instid1(VALU_DEP_1)
	v_add3_u32 v4, v24, v3, v4
	v_mov_b32_dpp v24, v4 row_shr:1 row_mask:0xf bank_mask:0xf
	s_delay_alu instid0(VALU_DEP_1) | instskip(NEXT) | instid1(VALU_DEP_1)
	v_cndmask_b32_e64 v24, v24, 0, s3
	v_add_nc_u32_e32 v4, v24, v4
	s_delay_alu instid0(VALU_DEP_1) | instskip(NEXT) | instid1(VALU_DEP_1)
	v_mov_b32_dpp v24, v4 row_shr:2 row_mask:0xf bank_mask:0xf
	v_cndmask_b32_e64 v24, 0, v24, s4
	s_delay_alu instid0(VALU_DEP_1) | instskip(NEXT) | instid1(VALU_DEP_1)
	v_add_nc_u32_e32 v4, v4, v24
	v_mov_b32_dpp v24, v4 row_shr:4 row_mask:0xf bank_mask:0xf
	s_delay_alu instid0(VALU_DEP_1) | instskip(NEXT) | instid1(VALU_DEP_1)
	v_cndmask_b32_e64 v24, 0, v24, s5
	v_add_nc_u32_e32 v4, v4, v24
	s_delay_alu instid0(VALU_DEP_1) | instskip(NEXT) | instid1(VALU_DEP_1)
	v_mov_b32_dpp v24, v4 row_shr:8 row_mask:0xf bank_mask:0xf
	v_cndmask_b32_e64 v24, 0, v24, s6
	s_delay_alu instid0(VALU_DEP_1) | instskip(SKIP_3) | instid1(VALU_DEP_1)
	v_add_nc_u32_e32 v4, v4, v24
	ds_swizzle_b32 v24, v4 offset:swizzle(BROADCAST,32,15)
	s_waitcnt lgkmcnt(0)
	v_cndmask_b32_e64 v24, v24, 0, s7
	v_add_nc_u32_e32 v4, v4, v24
	s_and_saveexec_b32 s23, s11
	s_cbranch_execz .LBB5_12
; %bb.11:                               ;   in Loop: Header=BB5_3 Depth=1
	ds_store_b32 v13, v4 offset:5184
.LBB5_12:                               ;   in Loop: Header=BB5_3 Depth=1
	s_or_b32 exec_lo, exec_lo, s23
	s_waitcnt lgkmcnt(0)
	s_barrier
	buffer_gl0_inv
	s_and_saveexec_b32 s23, s0
	s_cbranch_execz .LBB5_14
; %bb.13:                               ;   in Loop: Header=BB5_3 Depth=1
	ds_load_b32 v24, v14 offset:5184
	s_waitcnt lgkmcnt(0)
	v_mov_b32_dpp v25, v24 row_shr:1 row_mask:0xf bank_mask:0xf
	s_delay_alu instid0(VALU_DEP_1) | instskip(NEXT) | instid1(VALU_DEP_1)
	v_cndmask_b32_e64 v25, v25, 0, s8
	v_add_nc_u32_e32 v24, v25, v24
	s_delay_alu instid0(VALU_DEP_1) | instskip(NEXT) | instid1(VALU_DEP_1)
	v_mov_b32_dpp v25, v24 row_shr:2 row_mask:0xf bank_mask:0xf
	v_cndmask_b32_e64 v25, 0, v25, s9
	s_delay_alu instid0(VALU_DEP_1) | instskip(NEXT) | instid1(VALU_DEP_1)
	v_add_nc_u32_e32 v24, v24, v25
	v_mov_b32_dpp v25, v24 row_shr:4 row_mask:0xf bank_mask:0xf
	s_delay_alu instid0(VALU_DEP_1) | instskip(NEXT) | instid1(VALU_DEP_1)
	v_cndmask_b32_e64 v25, 0, v25, s10
	v_add_nc_u32_e32 v24, v24, v25
	ds_store_b32 v14, v24 offset:5184
.LBB5_14:                               ;   in Loop: Header=BB5_3 Depth=1
	s_or_b32 exec_lo, exec_lo, s23
	v_mov_b32_e32 v24, 0
	s_waitcnt lgkmcnt(0)
	s_barrier
	buffer_gl0_inv
	s_and_saveexec_b32 s23, s1
	s_cbranch_execz .LBB5_16
; %bb.15:                               ;   in Loop: Header=BB5_3 Depth=1
	ds_load_b32 v24, v13 offset:5180
.LBB5_16:                               ;   in Loop: Header=BB5_3 Depth=1
	s_or_b32 exec_lo, exec_lo, s23
	s_waitcnt lgkmcnt(0)
	v_add_nc_u32_e32 v4, v24, v4
	ds_load_b32 v25, v17 offset:5204
	s_add_i32 s18, s18, 4
	s_delay_alu instid0(SALU_CYCLE_1) | instskip(SKIP_3) | instid1(VALU_DEP_1)
	s_cmp_ge_u32 s18, s19
	ds_bpermute_b32 v4, v15, v4
	s_waitcnt lgkmcnt(0)
	v_cndmask_b32_e64 v4, v4, v24, s2
	v_lshl_add_u32 v4, v25, 16, v4
	s_delay_alu instid0(VALU_DEP_1) | instskip(NEXT) | instid1(VALU_DEP_1)
	v_add_nc_u32_e32 v5, v4, v5
	v_add_nc_u32_e32 v6, v5, v6
	s_delay_alu instid0(VALU_DEP_1) | instskip(NEXT) | instid1(VALU_DEP_1)
	v_add_nc_u32_e32 v7, v6, v7
	v_add_nc_u32_e32 v24, v7, v8
	;; [unrolled: 3-line block ×3, first 2 shown]
	s_delay_alu instid0(VALU_DEP_1)
	v_add_nc_u32_e32 v2, v1, v3
	v_and_b32_e32 v3, 0xffff, v21
	ds_store_2addr_b64 v11, v[4:5], v[6:7] offset1:1
	ds_store_2addr_b64 v11, v[24:25], v[1:2] offset0:2 offset1:3
	s_waitcnt lgkmcnt(0)
	s_barrier
	buffer_gl0_inv
	ds_load_u16 v1, v20
	ds_load_u16 v2, v22
	v_and_b32_e32 v4, 0xffff, v23
	v_lshlrev_b32_e32 v3, 2, v3
	s_waitcnt lgkmcnt(0)
	s_delay_alu instid0(VALU_DEP_2) | instskip(NEXT) | instid1(VALU_DEP_2)
	v_lshlrev_b32_e32 v4, 2, v4
	v_lshl_add_u32 v3, v1, 2, v3
	s_delay_alu instid0(VALU_DEP_2)
	v_lshl_add_u32 v4, v2, 2, v4
	s_cbranch_scc0 .LBB5_2
; %bb.17:
                                        ; implicit-def: $vgpr2
                                        ; implicit-def: $sgpr22
.LBB5_18:
	s_mov_b32 s22, 0
	s_barrier
	buffer_gl0_inv
	ds_store_b32 v3, v19
	ds_store_b32 v4, v18
	s_waitcnt lgkmcnt(0)
	s_barrier
.LBB5_19:
	s_and_b32 vcc_lo, exec_lo, s22
	s_cbranch_vccz .LBB5_38
; %bb.20:
	v_sub_nc_u32_e32 v1, 0, v12
	v_cmp_gt_u32_e64 s12, 0x3cc, v0
	v_cmp_gt_u32_e64 s13, 0x32a, v0
	;; [unrolled: 1-line block ×6, first 2 shown]
	v_dual_mov_b32 v20, 0 :: v_dual_add_nc_u32 v19, v16, v1
	s_mov_b32 s18, 0
	s_branch .LBB5_22
.LBB5_21:                               ;   in Loop: Header=BB5_22 Depth=1
	s_delay_alu instid0(VALU_DEP_2) | instskip(NEXT) | instid1(VALU_DEP_2)
	v_lshlrev_b32_e32 v3, 2, v2
	v_lshlrev_b32_e32 v4, 2, v1
	s_barrier
	buffer_gl0_inv
	ds_store_b32 v3, v18
	ds_store_b32 v4, v17
	s_waitcnt lgkmcnt(0)
	s_barrier
	buffer_gl0_inv
	ds_load_b64 v[9:10], v16
	s_add_i32 s18, s18, 4
	s_waitcnt lgkmcnt(0)
	s_barrier
	buffer_gl0_inv
	s_cbranch_execz .LBB5_37
.LBB5_22:                               ; =>This Inner Loop Header: Depth=1
	v_dual_mov_b32 v17, v10 :: v_dual_mov_b32 v18, v9
	ds_store_2addr_b32 v19, v20, v20 offset1:162
	s_and_saveexec_b32 s19, s12
	s_cbranch_execz .LBB5_29
; %bb.23:                               ;   in Loop: Header=BB5_22 Depth=1
	ds_store_b32 v19, v20 offset:1296
	s_and_b32 exec_lo, exec_lo, s13
	s_cbranch_execz .LBB5_29
; %bb.24:                               ;   in Loop: Header=BB5_22 Depth=1
	ds_store_b32 v19, v20 offset:1944
	s_and_b32 exec_lo, exec_lo, s14
	;; [unrolled: 4-line block ×5, first 2 shown]
	s_cbranch_execz .LBB5_29
; %bb.28:                               ;   in Loop: Header=BB5_22 Depth=1
	ds_store_b32 v19, v20 offset:4536
.LBB5_29:                               ;   in Loop: Header=BB5_22 Depth=1
	s_or_b32 exec_lo, exec_lo, s19
	v_lshrrev_b32_e32 v1, s18, v18
	v_bfe_u32 v2, v18, s18, 3
	s_delay_alu instid0(VALU_DEP_2) | instskip(NEXT) | instid1(VALU_DEP_2)
	v_lshrrev_b32_e32 v1, 2, v1
	v_mad_u32_u24 v2, 0xa2, v2, v0
	s_delay_alu instid0(VALU_DEP_2) | instskip(NEXT) | instid1(VALU_DEP_1)
	v_and_b32_e32 v1, 2, v1
	v_lshl_or_b32 v10, v2, 2, v1
	v_lshrrev_b32_e32 v1, s18, v17
	v_bfe_u32 v2, v17, s18, 3
	ds_load_u16 v9, v10
	v_lshrrev_b32_e32 v1, 2, v1
	v_mad_u32_u24 v2, 0xa2, v2, v0
	s_delay_alu instid0(VALU_DEP_2) | instskip(NEXT) | instid1(VALU_DEP_1)
	v_and_b32_e32 v1, 2, v1
	v_lshl_or_b32 v21, v2, 2, v1
	s_waitcnt lgkmcnt(0)
	v_add_nc_u16 v3, v9, 1
	ds_store_b16 v10, v3
	ds_load_u16 v22, v21
	s_waitcnt lgkmcnt(0)
	v_add_nc_u16 v1, v22, 1
	ds_store_b16 v21, v1
	s_waitcnt lgkmcnt(0)
	s_barrier
	buffer_gl0_inv
	ds_load_2addr_b64 v[5:8], v11 offset1:1
	ds_load_2addr_b64 v[1:4], v11 offset0:2 offset1:3
	s_waitcnt lgkmcnt(1)
	v_add_nc_u32_e32 v23, v6, v5
	s_delay_alu instid0(VALU_DEP_1) | instskip(SKIP_1) | instid1(VALU_DEP_1)
	v_add3_u32 v23, v23, v7, v8
	s_waitcnt lgkmcnt(0)
	v_add3_u32 v23, v23, v1, v2
	s_delay_alu instid0(VALU_DEP_1) | instskip(NEXT) | instid1(VALU_DEP_1)
	v_add3_u32 v4, v23, v3, v4
	v_mov_b32_dpp v23, v4 row_shr:1 row_mask:0xf bank_mask:0xf
	s_delay_alu instid0(VALU_DEP_1) | instskip(NEXT) | instid1(VALU_DEP_1)
	v_cndmask_b32_e64 v23, v23, 0, s3
	v_add_nc_u32_e32 v4, v23, v4
	s_delay_alu instid0(VALU_DEP_1) | instskip(NEXT) | instid1(VALU_DEP_1)
	v_mov_b32_dpp v23, v4 row_shr:2 row_mask:0xf bank_mask:0xf
	v_cndmask_b32_e64 v23, 0, v23, s4
	s_delay_alu instid0(VALU_DEP_1) | instskip(NEXT) | instid1(VALU_DEP_1)
	v_add_nc_u32_e32 v4, v4, v23
	v_mov_b32_dpp v23, v4 row_shr:4 row_mask:0xf bank_mask:0xf
	s_delay_alu instid0(VALU_DEP_1) | instskip(NEXT) | instid1(VALU_DEP_1)
	v_cndmask_b32_e64 v23, 0, v23, s5
	v_add_nc_u32_e32 v4, v4, v23
	s_delay_alu instid0(VALU_DEP_1) | instskip(NEXT) | instid1(VALU_DEP_1)
	v_mov_b32_dpp v23, v4 row_shr:8 row_mask:0xf bank_mask:0xf
	v_cndmask_b32_e64 v23, 0, v23, s6
	s_delay_alu instid0(VALU_DEP_1) | instskip(SKIP_3) | instid1(VALU_DEP_1)
	v_add_nc_u32_e32 v4, v4, v23
	ds_swizzle_b32 v23, v4 offset:swizzle(BROADCAST,32,15)
	s_waitcnt lgkmcnt(0)
	v_cndmask_b32_e64 v23, v23, 0, s7
	v_add_nc_u32_e32 v4, v4, v23
	s_and_saveexec_b32 s19, s11
	s_cbranch_execz .LBB5_31
; %bb.30:                               ;   in Loop: Header=BB5_22 Depth=1
	ds_store_b32 v13, v4 offset:5184
.LBB5_31:                               ;   in Loop: Header=BB5_22 Depth=1
	s_or_b32 exec_lo, exec_lo, s19
	s_waitcnt lgkmcnt(0)
	s_barrier
	buffer_gl0_inv
	s_and_saveexec_b32 s19, s0
	s_cbranch_execz .LBB5_33
; %bb.32:                               ;   in Loop: Header=BB5_22 Depth=1
	ds_load_b32 v23, v14 offset:5184
	s_waitcnt lgkmcnt(0)
	v_mov_b32_dpp v24, v23 row_shr:1 row_mask:0xf bank_mask:0xf
	s_delay_alu instid0(VALU_DEP_1) | instskip(NEXT) | instid1(VALU_DEP_1)
	v_cndmask_b32_e64 v24, v24, 0, s8
	v_add_nc_u32_e32 v23, v24, v23
	s_delay_alu instid0(VALU_DEP_1) | instskip(NEXT) | instid1(VALU_DEP_1)
	v_mov_b32_dpp v24, v23 row_shr:2 row_mask:0xf bank_mask:0xf
	v_cndmask_b32_e64 v24, 0, v24, s9
	s_delay_alu instid0(VALU_DEP_1) | instskip(NEXT) | instid1(VALU_DEP_1)
	v_add_nc_u32_e32 v23, v23, v24
	v_mov_b32_dpp v24, v23 row_shr:4 row_mask:0xf bank_mask:0xf
	s_delay_alu instid0(VALU_DEP_1) | instskip(NEXT) | instid1(VALU_DEP_1)
	v_cndmask_b32_e64 v24, 0, v24, s10
	v_add_nc_u32_e32 v23, v23, v24
	ds_store_b32 v14, v23 offset:5184
.LBB5_33:                               ;   in Loop: Header=BB5_22 Depth=1
	s_or_b32 exec_lo, exec_lo, s19
	v_mov_b32_e32 v23, 0
	s_waitcnt lgkmcnt(0)
	s_barrier
	buffer_gl0_inv
	s_and_saveexec_b32 s19, s1
	s_cbranch_execz .LBB5_35
; %bb.34:                               ;   in Loop: Header=BB5_22 Depth=1
	ds_load_b32 v23, v13 offset:5180
.LBB5_35:                               ;   in Loop: Header=BB5_22 Depth=1
	s_or_b32 exec_lo, exec_lo, s19
	s_waitcnt lgkmcnt(0)
	v_add_nc_u32_e32 v4, v23, v4
	ds_load_b32 v24, v20 offset:5204
	s_cmp_gt_u32 s18, 27
	ds_bpermute_b32 v4, v15, v4
	s_waitcnt lgkmcnt(0)
	v_cndmask_b32_e64 v4, v4, v23, s2
	s_delay_alu instid0(VALU_DEP_1) | instskip(NEXT) | instid1(VALU_DEP_1)
	v_lshl_add_u32 v4, v24, 16, v4
	v_add_nc_u32_e32 v5, v4, v5
	s_delay_alu instid0(VALU_DEP_1) | instskip(NEXT) | instid1(VALU_DEP_1)
	v_add_nc_u32_e32 v6, v5, v6
	v_add_nc_u32_e32 v7, v6, v7
	s_delay_alu instid0(VALU_DEP_1) | instskip(NEXT) | instid1(VALU_DEP_1)
	v_add_nc_u32_e32 v23, v7, v8
	;; [unrolled: 3-line block ×3, first 2 shown]
	v_add_nc_u32_e32 v2, v1, v3
	ds_store_2addr_b64 v11, v[4:5], v[6:7] offset1:1
	ds_store_2addr_b64 v11, v[23:24], v[1:2] offset0:2 offset1:3
	s_waitcnt lgkmcnt(0)
	s_barrier
	buffer_gl0_inv
	ds_load_u16 v1, v10
	ds_load_u16 v3, v21
	v_and_b32_e32 v2, 0xffff, v9
	v_and_b32_e32 v4, 0xffff, v22
	s_waitcnt lgkmcnt(1)
	s_delay_alu instid0(VALU_DEP_2) | instskip(SKIP_1) | instid1(VALU_DEP_2)
	v_add_nc_u32_e32 v2, v1, v2
	s_waitcnt lgkmcnt(0)
	v_add_nc_u32_e32 v1, v3, v4
	s_cbranch_scc0 .LBB5_21
; %bb.36:
                                        ; implicit-def: $vgpr10
                                        ; implicit-def: $sgpr18
.LBB5_37:
	s_delay_alu instid0(VALU_DEP_2) | instskip(NEXT) | instid1(VALU_DEP_2)
	v_lshlrev_b32_e32 v0, 2, v2
	v_lshlrev_b32_e32 v1, 2, v1
	s_barrier
	buffer_gl0_inv
	ds_store_b32 v0, v18
	ds_store_b32 v1, v17
	s_waitcnt lgkmcnt(0)
	s_barrier
.LBB5_38:
	buffer_gl0_inv
	ds_load_2addr_b32 v[0:1], v12 offset1:162
	s_waitcnt lgkmcnt(0)
	v_not_b32_e32 v0, v0
	v_not_b32_e32 v1, v1
	s_clause 0x1
	global_store_b32 v12, v0, s[20:21]
	global_store_b32 v12, v1, s[20:21] offset:648
	s_nop 0
	s_sendmsg sendmsg(MSG_DEALLOC_VGPRS)
	s_endpgm
	.section	.rodata,"a",@progbits
	.p2align	6, 0x0
	.amdhsa_kernel _Z15sort_key_kernelILj162ELj2ELb1ELb1EjEvPT3_jj
		.amdhsa_group_segment_fixed_size 5216
		.amdhsa_private_segment_fixed_size 0
		.amdhsa_kernarg_size 16
		.amdhsa_user_sgpr_count 15
		.amdhsa_user_sgpr_dispatch_ptr 0
		.amdhsa_user_sgpr_queue_ptr 0
		.amdhsa_user_sgpr_kernarg_segment_ptr 1
		.amdhsa_user_sgpr_dispatch_id 0
		.amdhsa_user_sgpr_private_segment_size 0
		.amdhsa_wavefront_size32 1
		.amdhsa_uses_dynamic_stack 0
		.amdhsa_enable_private_segment 0
		.amdhsa_system_sgpr_workgroup_id_x 1
		.amdhsa_system_sgpr_workgroup_id_y 0
		.amdhsa_system_sgpr_workgroup_id_z 0
		.amdhsa_system_sgpr_workgroup_info 0
		.amdhsa_system_vgpr_workitem_id 0
		.amdhsa_next_free_vgpr 26
		.amdhsa_next_free_sgpr 24
		.amdhsa_reserve_vcc 1
		.amdhsa_float_round_mode_32 0
		.amdhsa_float_round_mode_16_64 0
		.amdhsa_float_denorm_mode_32 3
		.amdhsa_float_denorm_mode_16_64 3
		.amdhsa_dx10_clamp 1
		.amdhsa_ieee_mode 1
		.amdhsa_fp16_overflow 0
		.amdhsa_workgroup_processor_mode 1
		.amdhsa_memory_ordered 1
		.amdhsa_forward_progress 0
		.amdhsa_shared_vgpr_count 0
		.amdhsa_exception_fp_ieee_invalid_op 0
		.amdhsa_exception_fp_denorm_src 0
		.amdhsa_exception_fp_ieee_div_zero 0
		.amdhsa_exception_fp_ieee_overflow 0
		.amdhsa_exception_fp_ieee_underflow 0
		.amdhsa_exception_fp_ieee_inexact 0
		.amdhsa_exception_int_div_zero 0
	.end_amdhsa_kernel
	.section	.text._Z15sort_key_kernelILj162ELj2ELb1ELb1EjEvPT3_jj,"axG",@progbits,_Z15sort_key_kernelILj162ELj2ELb1ELb1EjEvPT3_jj,comdat
.Lfunc_end5:
	.size	_Z15sort_key_kernelILj162ELj2ELb1ELb1EjEvPT3_jj, .Lfunc_end5-_Z15sort_key_kernelILj162ELj2ELb1ELb1EjEvPT3_jj
                                        ; -- End function
	.section	.AMDGPU.csdata,"",@progbits
; Kernel info:
; codeLenInByte = 2500
; NumSgprs: 26
; NumVgprs: 26
; ScratchSize: 0
; MemoryBound: 0
; FloatMode: 240
; IeeeMode: 1
; LDSByteSize: 5216 bytes/workgroup (compile time only)
; SGPRBlocks: 3
; VGPRBlocks: 3
; NumSGPRsForWavesPerEU: 26
; NumVGPRsForWavesPerEU: 26
; Occupancy: 15
; WaveLimiterHint : 1
; COMPUTE_PGM_RSRC2:SCRATCH_EN: 0
; COMPUTE_PGM_RSRC2:USER_SGPR: 15
; COMPUTE_PGM_RSRC2:TRAP_HANDLER: 0
; COMPUTE_PGM_RSRC2:TGID_X_EN: 1
; COMPUTE_PGM_RSRC2:TGID_Y_EN: 0
; COMPUTE_PGM_RSRC2:TGID_Z_EN: 0
; COMPUTE_PGM_RSRC2:TIDIG_COMP_CNT: 0
	.section	.text._Z15sort_key_kernelILj102ELj3ELb0ELb1EtEvPT3_jj,"axG",@progbits,_Z15sort_key_kernelILj102ELj3ELb0ELb1EtEvPT3_jj,comdat
	.protected	_Z15sort_key_kernelILj102ELj3ELb0ELb1EtEvPT3_jj ; -- Begin function _Z15sort_key_kernelILj102ELj3ELb0ELb1EtEvPT3_jj
	.globl	_Z15sort_key_kernelILj102ELj3ELb0ELb1EtEvPT3_jj
	.p2align	8
	.type	_Z15sort_key_kernelILj102ELj3ELb0ELb1EtEvPT3_jj,@function
_Z15sort_key_kernelILj102ELj3ELb0ELb1EtEvPT3_jj: ; @_Z15sort_key_kernelILj102ELj3ELb0ELb1EtEvPT3_jj
; %bb.0:
	s_load_b128 s[20:23], s[0:1], 0x0
	v_mbcnt_lo_u32_b32 v4, -1, 0
	v_mul_u32_u24_e32 v1, 3, v0
	s_mov_b32 s1, 0
	s_mul_i32 s0, s15, 0x132
	v_and_b32_e32 v7, 0x60, v0
	v_add_nc_u32_e32 v8, -1, v4
	s_lshl_b64 s[0:1], s[0:1], 1
	v_and_b32_e32 v5, 15, v4
	v_and_b32_e32 v6, 16, v4
	;; [unrolled: 1-line block ×3, first 2 shown]
	v_cmp_gt_i32_e32 vcc_lo, 0, v8
	v_lshlrev_b32_e32 v1, 1, v1
	v_lshlrev_b32_e32 v11, 5, v0
	v_cmp_eq_u32_e64 s9, 0, v5
	v_cmp_lt_u32_e64 s8, 1, v5
	v_cmp_lt_u32_e64 s7, 3, v5
	;; [unrolled: 1-line block ×3, first 2 shown]
	v_min_u32_e32 v5, 0x46, v7
	v_lshrrev_b32_e32 v9, 3, v0
	s_waitcnt lgkmcnt(0)
	s_add_u32 s12, s20, s0
	s_addc_u32 s13, s21, s1
	v_cmp_eq_u32_e64 s0, 0, v4
	v_cndmask_b32_e32 v4, v8, v4, vcc_lo
	s_clause 0x1
	global_load_b32 v2, v1, s[12:13]
	global_load_u16 v3, v1, s[12:13] offset:4
	v_lshlrev_b32_e32 v19, 1, v0
	v_mad_i32_i24 v15, 0xffffffe4, v0, v11
	v_add_nc_u32_e32 v5, 31, v5
	s_cmp_eq_u32 s22, 0
	v_and_b32_e32 v14, 12, v9
	s_cselect_b32 s14, -1, 0
	s_cmp_eq_u32 s23, 16
	v_add_co_u32 v9, s12, s12, v1
	s_cselect_b32 s15, -1, 0
	v_cmp_gt_u32_e64 s11, 0x330, v0
	v_cmp_gt_u32_e64 s2, 4, v0
	v_cmp_lt_u32_e64 s1, 31, v0
	v_lshlrev_b32_e32 v16, 2, v0
	v_cmp_eq_u32_e64 s5, 0, v6
	v_cmp_eq_u32_e64 s4, 0, v10
	v_cmp_lt_u32_e64 s3, 1, v10
	v_lshlrev_b32_e32 v13, 2, v4
	v_add_nc_u32_e32 v12, v15, v19
	v_cmp_eq_u32_e64 s10, v5, v0
	v_add_co_ci_u32_e64 v10, null, s13, 0, s12
	v_cmp_gt_u32_e64 s12, 0x2ca, v0
	s_and_b32 s14, s14, s15
	s_mov_b32 s13, -1
	s_and_b32 vcc_lo, exec_lo, s14
	s_waitcnt vmcnt(1)
	v_xor_b32_e32 v18, -1, v2
	s_waitcnt vmcnt(0)
	v_xor_b32_e32 v17, -1, v3
	s_cbranch_vccnz .LBB6_21
; %bb.1:
	v_cmp_gt_u32_e64 s13, 0x264, v0
	v_cmp_gt_u32_e64 s14, 0x1fe, v0
	;; [unrolled: 1-line block ×6, first 2 shown]
	v_dual_mov_b32 v20, 0 :: v_dual_mov_b32 v5, v17
	v_mov_b32_e32 v22, v18
	s_sub_i32 s19, s23, s22
	s_branch .LBB6_3
.LBB6_2:                                ;   in Loop: Header=BB6_3 Depth=1
	s_barrier
	buffer_gl0_inv
	ds_store_b16 v2, v22
	ds_store_b16 v3, v23
	;; [unrolled: 1-line block ×3, first 2 shown]
	s_waitcnt lgkmcnt(0)
	s_barrier
	buffer_gl0_inv
	ds_load_b32 v22, v12
	ds_load_u16 v5, v12 offset:4
	s_add_i32 s19, s19, -4
	s_waitcnt lgkmcnt(0)
	s_barrier
	buffer_gl0_inv
	s_cbranch_execz .LBB6_20
.LBB6_3:                                ; =>This Inner Loop Header: Depth=1
	s_delay_alu instid0(VALU_DEP_2)
	v_mov_b32_e32 v21, v5
	s_and_saveexec_b32 s20, s11
	s_cbranch_execz .LBB6_12
; %bb.4:                                ;   in Loop: Header=BB6_3 Depth=1
	ds_store_b32 v16, v20
	s_and_b32 exec_lo, exec_lo, s12
	s_cbranch_execz .LBB6_12
; %bb.5:                                ;   in Loop: Header=BB6_3 Depth=1
	ds_store_b32 v16, v20 offset:408
	s_and_b32 exec_lo, exec_lo, s13
	s_cbranch_execz .LBB6_12
; %bb.6:                                ;   in Loop: Header=BB6_3 Depth=1
	ds_store_b32 v16, v20 offset:816
	;; [unrolled: 4-line block ×5, first 2 shown]
	s_and_b32 exec_lo, exec_lo, s17
	s_cbranch_execz .LBB6_12
; %bb.10:                               ;   in Loop: Header=BB6_3 Depth=1
	ds_store_b32 v16, v20 offset:2448
	s_and_b32 exec_lo, exec_lo, s18
	s_cbranch_execz .LBB6_12
; %bb.11:                               ;   in Loop: Header=BB6_3 Depth=1
	ds_store_b32 v16, v20 offset:2856
.LBB6_12:                               ;   in Loop: Header=BB6_3 Depth=1
	s_or_b32 exec_lo, exec_lo, s20
	v_and_b32_e32 v1, 0xffff, v22
	s_min_u32 s20, s19, 4
	v_lshrrev_b32_e32 v23, 16, v22
	s_lshl_b32 s20, -1, s20
	v_and_b32_e32 v3, 0xffff, v21
	v_lshrrev_b32_e32 v1, s22, v1
	s_not_b32 s20, s20
	s_delay_alu instid0(VALU_DEP_1) | instid1(SALU_CYCLE_1)
	v_and_b32_e32 v1, s20, v1
	s_delay_alu instid0(VALU_DEP_1) | instskip(SKIP_1) | instid1(VALU_DEP_2)
	v_and_b32_e32 v2, 7, v1
	v_lshrrev_b32_e32 v1, 3, v1
	v_mul_u32_u24_e32 v2, 0x66, v2
	s_delay_alu instid0(VALU_DEP_1) | instskip(NEXT) | instid1(VALU_DEP_1)
	v_add_lshl_u32 v2, v2, v0, 1
	v_add_lshl_u32 v25, v2, v1, 1
	v_lshrrev_b32_e32 v1, s22, v23
	ds_load_u16 v24, v25
	v_and_b32_e32 v1, s20, v1
	s_delay_alu instid0(VALU_DEP_1) | instskip(SKIP_1) | instid1(VALU_DEP_2)
	v_and_b32_e32 v2, 7, v1
	v_lshrrev_b32_e32 v1, 3, v1
	v_mul_u32_u24_e32 v2, 0x66, v2
	s_delay_alu instid0(VALU_DEP_1) | instskip(SKIP_2) | instid1(VALU_DEP_2)
	v_add_lshl_u32 v2, v2, v0, 1
	s_waitcnt lgkmcnt(0)
	v_add_nc_u16 v4, v24, 1
	v_add_lshl_u32 v26, v2, v1, 1
	v_lshrrev_b32_e32 v1, s22, v3
	ds_store_b16 v25, v4
	ds_load_u16 v27, v26
	v_and_b32_e32 v1, s20, v1
	s_delay_alu instid0(VALU_DEP_1) | instskip(SKIP_1) | instid1(VALU_DEP_2)
	v_and_b32_e32 v2, 7, v1
	v_lshrrev_b32_e32 v1, 3, v1
	v_mul_u32_u24_e32 v2, 0x66, v2
	s_delay_alu instid0(VALU_DEP_1) | instskip(SKIP_2) | instid1(VALU_DEP_2)
	v_add_lshl_u32 v2, v2, v0, 1
	s_waitcnt lgkmcnt(0)
	v_add_nc_u16 v3, v27, 1
	v_add_lshl_u32 v29, v2, v1, 1
	ds_store_b16 v26, v3
	ds_load_u16 v28, v29
	s_waitcnt lgkmcnt(0)
	v_add_nc_u16 v1, v28, 1
	ds_store_b16 v29, v1
	s_waitcnt lgkmcnt(0)
	s_barrier
	buffer_gl0_inv
	ds_load_2addr_b64 v[5:8], v11 offset1:1
	ds_load_2addr_b64 v[1:4], v11 offset0:2 offset1:3
	s_waitcnt lgkmcnt(1)
	v_add_nc_u32_e32 v30, v6, v5
	s_delay_alu instid0(VALU_DEP_1) | instskip(SKIP_1) | instid1(VALU_DEP_1)
	v_add3_u32 v30, v30, v7, v8
	s_waitcnt lgkmcnt(0)
	v_add3_u32 v30, v30, v1, v2
	s_delay_alu instid0(VALU_DEP_1) | instskip(NEXT) | instid1(VALU_DEP_1)
	v_add3_u32 v4, v30, v3, v4
	v_mov_b32_dpp v30, v4 row_shr:1 row_mask:0xf bank_mask:0xf
	s_delay_alu instid0(VALU_DEP_1) | instskip(NEXT) | instid1(VALU_DEP_1)
	v_cndmask_b32_e64 v30, v30, 0, s9
	v_add_nc_u32_e32 v4, v30, v4
	s_delay_alu instid0(VALU_DEP_1) | instskip(NEXT) | instid1(VALU_DEP_1)
	v_mov_b32_dpp v30, v4 row_shr:2 row_mask:0xf bank_mask:0xf
	v_cndmask_b32_e64 v30, 0, v30, s8
	s_delay_alu instid0(VALU_DEP_1) | instskip(NEXT) | instid1(VALU_DEP_1)
	v_add_nc_u32_e32 v4, v4, v30
	v_mov_b32_dpp v30, v4 row_shr:4 row_mask:0xf bank_mask:0xf
	s_delay_alu instid0(VALU_DEP_1) | instskip(NEXT) | instid1(VALU_DEP_1)
	v_cndmask_b32_e64 v30, 0, v30, s7
	v_add_nc_u32_e32 v4, v4, v30
	s_delay_alu instid0(VALU_DEP_1) | instskip(NEXT) | instid1(VALU_DEP_1)
	v_mov_b32_dpp v30, v4 row_shr:8 row_mask:0xf bank_mask:0xf
	v_cndmask_b32_e64 v30, 0, v30, s6
	s_delay_alu instid0(VALU_DEP_1) | instskip(SKIP_3) | instid1(VALU_DEP_1)
	v_add_nc_u32_e32 v4, v4, v30
	ds_swizzle_b32 v30, v4 offset:swizzle(BROADCAST,32,15)
	s_waitcnt lgkmcnt(0)
	v_cndmask_b32_e64 v30, v30, 0, s5
	v_add_nc_u32_e32 v4, v4, v30
	s_and_saveexec_b32 s20, s10
	s_cbranch_execz .LBB6_14
; %bb.13:                               ;   in Loop: Header=BB6_3 Depth=1
	ds_store_b32 v14, v4 offset:3264
.LBB6_14:                               ;   in Loop: Header=BB6_3 Depth=1
	s_or_b32 exec_lo, exec_lo, s20
	s_waitcnt lgkmcnt(0)
	s_barrier
	buffer_gl0_inv
	s_and_saveexec_b32 s20, s2
	s_cbranch_execz .LBB6_16
; %bb.15:                               ;   in Loop: Header=BB6_3 Depth=1
	ds_load_b32 v30, v15 offset:3264
	s_waitcnt lgkmcnt(0)
	v_mov_b32_dpp v31, v30 row_shr:1 row_mask:0xf bank_mask:0xf
	s_delay_alu instid0(VALU_DEP_1) | instskip(NEXT) | instid1(VALU_DEP_1)
	v_cndmask_b32_e64 v31, v31, 0, s4
	v_add_nc_u32_e32 v30, v31, v30
	s_delay_alu instid0(VALU_DEP_1) | instskip(NEXT) | instid1(VALU_DEP_1)
	v_mov_b32_dpp v31, v30 row_shr:2 row_mask:0xf bank_mask:0xf
	v_cndmask_b32_e64 v31, 0, v31, s3
	s_delay_alu instid0(VALU_DEP_1)
	v_add_nc_u32_e32 v30, v30, v31
	ds_store_b32 v15, v30 offset:3264
.LBB6_16:                               ;   in Loop: Header=BB6_3 Depth=1
	s_or_b32 exec_lo, exec_lo, s20
	v_mov_b32_e32 v30, 0
	s_waitcnt lgkmcnt(0)
	s_barrier
	buffer_gl0_inv
	s_and_saveexec_b32 s20, s1
	s_cbranch_execz .LBB6_18
; %bb.17:                               ;   in Loop: Header=BB6_3 Depth=1
	ds_load_b32 v30, v14 offset:3260
.LBB6_18:                               ;   in Loop: Header=BB6_3 Depth=1
	s_or_b32 exec_lo, exec_lo, s20
	s_waitcnt lgkmcnt(0)
	v_add_nc_u32_e32 v4, v30, v4
	ds_load_b32 v31, v20 offset:3276
	s_add_i32 s22, s22, 4
	s_delay_alu instid0(SALU_CYCLE_1) | instskip(SKIP_3) | instid1(VALU_DEP_1)
	s_cmp_ge_u32 s22, s23
	ds_bpermute_b32 v4, v13, v4
	s_waitcnt lgkmcnt(0)
	v_cndmask_b32_e64 v4, v4, v30, s0
	v_lshl_add_u32 v4, v31, 16, v4
	s_delay_alu instid0(VALU_DEP_1) | instskip(NEXT) | instid1(VALU_DEP_1)
	v_add_nc_u32_e32 v5, v4, v5
	v_add_nc_u32_e32 v6, v5, v6
	s_delay_alu instid0(VALU_DEP_1) | instskip(NEXT) | instid1(VALU_DEP_1)
	v_add_nc_u32_e32 v7, v6, v7
	v_add_nc_u32_e32 v30, v7, v8
	;; [unrolled: 3-line block ×3, first 2 shown]
	s_delay_alu instid0(VALU_DEP_1)
	v_add_nc_u32_e32 v2, v1, v3
	ds_store_2addr_b64 v11, v[4:5], v[6:7] offset1:1
	ds_store_2addr_b64 v11, v[30:31], v[1:2] offset0:2 offset1:3
	s_waitcnt lgkmcnt(0)
	s_barrier
	buffer_gl0_inv
	ds_load_u16 v2, v25
	ds_load_u16 v3, v26
	;; [unrolled: 1-line block ×3, first 2 shown]
	v_and_b32_e32 v1, 0xffff, v24
	v_and_b32_e32 v5, 0xffff, v27
	;; [unrolled: 1-line block ×3, first 2 shown]
	s_waitcnt lgkmcnt(0)
	s_delay_alu instid0(VALU_DEP_3) | instskip(SKIP_3) | instid1(VALU_DEP_4)
	v_lshlrev_b32_e32 v7, 1, v1
	v_mov_b32_e32 v1, v22
	v_lshlrev_b32_e32 v5, 1, v5
	v_lshlrev_b32_e32 v6, 1, v6
	v_lshl_add_u32 v2, v2, 1, v7
	s_delay_alu instid0(VALU_DEP_3) | instskip(NEXT) | instid1(VALU_DEP_3)
	v_lshl_add_u32 v3, v3, 1, v5
	v_lshl_add_u32 v4, v4, 1, v6
	s_cbranch_scc0 .LBB6_2
; %bb.19:
                                        ; implicit-def: $vgpr5
                                        ; implicit-def: $vgpr22
                                        ; implicit-def: $sgpr19
.LBB6_20:
	s_mov_b32 s13, 0
	s_barrier
	buffer_gl0_inv
	ds_store_b16 v2, v1
	ds_store_b16 v3, v23
	;; [unrolled: 1-line block ×3, first 2 shown]
	s_waitcnt lgkmcnt(0)
	s_barrier
.LBB6_21:
	s_and_b32 vcc_lo, exec_lo, s13
	s_cbranch_vccz .LBB6_83
; %bb.22:
	s_and_saveexec_b32 s12, s11
	s_cbranch_execz .LBB6_31
; %bb.23:
	v_mov_b32_e32 v2, 0
	v_sub_nc_u32_e32 v1, v12, v19
	v_cmp_gt_u32_e32 vcc_lo, 0x2ca, v0
	ds_store_b32 v1, v2
	s_and_b32 exec_lo, exec_lo, vcc_lo
	s_cbranch_execz .LBB6_31
; %bb.24:
	v_sub_nc_u32_e32 v1, 0, v19
	v_cmp_gt_u32_e32 vcc_lo, 0x264, v0
	s_delay_alu instid0(VALU_DEP_2)
	v_add_nc_u32_e32 v1, v12, v1
	ds_store_b32 v1, v2 offset:408
	s_and_b32 exec_lo, exec_lo, vcc_lo
	s_cbranch_execz .LBB6_31
; %bb.25:
	v_mov_b32_e32 v2, 0
	v_cmp_gt_u32_e32 vcc_lo, 0x1fe, v0
	ds_store_b32 v1, v2 offset:816
	s_and_b32 exec_lo, exec_lo, vcc_lo
	s_cbranch_execz .LBB6_31
; %bb.26:
	v_cmp_gt_u32_e32 vcc_lo, 0x198, v0
	ds_store_b32 v1, v2 offset:1224
	s_and_b32 exec_lo, exec_lo, vcc_lo
	s_cbranch_execz .LBB6_31
; %bb.27:
	v_mov_b32_e32 v2, 0
	v_cmp_gt_u32_e32 vcc_lo, 0x132, v0
	ds_store_b32 v1, v2 offset:1632
	s_and_b32 exec_lo, exec_lo, vcc_lo
	s_cbranch_execz .LBB6_31
; %bb.28:
	v_cmp_gt_u32_e32 vcc_lo, 0xcc, v0
	ds_store_b32 v1, v2 offset:2040
	s_and_b32 exec_lo, exec_lo, vcc_lo
	s_cbranch_execz .LBB6_31
; %bb.29:
	v_mov_b32_e32 v2, 0
	v_cmp_gt_u32_e32 vcc_lo, 0x66, v0
	ds_store_b32 v1, v2 offset:2448
	s_and_b32 exec_lo, exec_lo, vcc_lo
	s_cbranch_execz .LBB6_31
; %bb.30:
	ds_store_b32 v1, v2 offset:2856
.LBB6_31:
	s_or_b32 exec_lo, exec_lo, s12
	v_and_b32_e32 v1, 7, v18
	v_lshrrev_b32_e32 v2, 2, v18
	s_delay_alu instid0(VALU_DEP_2) | instskip(NEXT) | instid1(VALU_DEP_2)
	v_mad_u32_u24 v1, 0x66, v1, v0
	v_and_b32_e32 v2, 2, v2
	s_delay_alu instid0(VALU_DEP_1)
	v_lshl_or_b32 v20, v1, 2, v2
	v_bfe_u32 v1, v18, 16, 3
	v_lshrrev_b32_e32 v2, 18, v18
	ds_load_u16 v19, v20
	v_mad_u32_u24 v1, 0x66, v1, v0
	v_and_b32_e32 v2, 2, v2
	s_delay_alu instid0(VALU_DEP_1) | instskip(SKIP_1) | instid1(VALU_DEP_1)
	v_lshl_or_b32 v22, v1, 2, v2
	v_and_b32_e32 v1, 0xffff, v17
	v_and_b32_e32 v2, 7, v1
	v_lshrrev_b32_e32 v1, 2, v1
	s_delay_alu instid0(VALU_DEP_2) | instskip(NEXT) | instid1(VALU_DEP_2)
	v_mad_u32_u24 v2, 0x66, v2, v0
	v_and_b32_e32 v1, 2, v1
	s_waitcnt lgkmcnt(0)
	v_add_nc_u16 v3, v19, 1
	s_delay_alu instid0(VALU_DEP_2)
	v_lshl_or_b32 v24, v2, 2, v1
	ds_store_b16 v20, v3
	ds_load_u16 v21, v22
	s_waitcnt lgkmcnt(0)
	v_add_nc_u16 v3, v21, 1
	ds_store_b16 v22, v3
	ds_load_u16 v23, v24
	s_waitcnt lgkmcnt(0)
	v_add_nc_u16 v1, v23, 1
	ds_store_b16 v24, v1
	s_waitcnt lgkmcnt(0)
	s_barrier
	buffer_gl0_inv
	ds_load_2addr_b64 v[5:8], v11 offset1:1
	ds_load_2addr_b64 v[1:4], v11 offset0:2 offset1:3
	s_waitcnt lgkmcnt(1)
	v_add_nc_u32_e32 v25, v6, v5
	s_delay_alu instid0(VALU_DEP_1) | instskip(SKIP_1) | instid1(VALU_DEP_1)
	v_add3_u32 v25, v25, v7, v8
	s_waitcnt lgkmcnt(0)
	v_add3_u32 v25, v25, v1, v2
	s_delay_alu instid0(VALU_DEP_1) | instskip(NEXT) | instid1(VALU_DEP_1)
	v_add3_u32 v4, v25, v3, v4
	v_mov_b32_dpp v25, v4 row_shr:1 row_mask:0xf bank_mask:0xf
	s_delay_alu instid0(VALU_DEP_1) | instskip(NEXT) | instid1(VALU_DEP_1)
	v_cndmask_b32_e64 v25, v25, 0, s9
	v_add_nc_u32_e32 v4, v25, v4
	s_delay_alu instid0(VALU_DEP_1) | instskip(NEXT) | instid1(VALU_DEP_1)
	v_mov_b32_dpp v25, v4 row_shr:2 row_mask:0xf bank_mask:0xf
	v_cndmask_b32_e64 v25, 0, v25, s8
	s_delay_alu instid0(VALU_DEP_1) | instskip(NEXT) | instid1(VALU_DEP_1)
	v_add_nc_u32_e32 v4, v4, v25
	v_mov_b32_dpp v25, v4 row_shr:4 row_mask:0xf bank_mask:0xf
	s_delay_alu instid0(VALU_DEP_1) | instskip(NEXT) | instid1(VALU_DEP_1)
	v_cndmask_b32_e64 v25, 0, v25, s7
	v_add_nc_u32_e32 v4, v4, v25
	s_delay_alu instid0(VALU_DEP_1) | instskip(NEXT) | instid1(VALU_DEP_1)
	v_mov_b32_dpp v25, v4 row_shr:8 row_mask:0xf bank_mask:0xf
	v_cndmask_b32_e64 v25, 0, v25, s6
	s_delay_alu instid0(VALU_DEP_1) | instskip(SKIP_3) | instid1(VALU_DEP_1)
	v_add_nc_u32_e32 v4, v4, v25
	ds_swizzle_b32 v25, v4 offset:swizzle(BROADCAST,32,15)
	s_waitcnt lgkmcnt(0)
	v_cndmask_b32_e64 v25, v25, 0, s5
	v_add_nc_u32_e32 v25, v4, v25
	s_and_saveexec_b32 s12, s10
	s_cbranch_execz .LBB6_33
; %bb.32:
	ds_store_b32 v14, v25 offset:3264
.LBB6_33:
	s_or_b32 exec_lo, exec_lo, s12
	s_waitcnt lgkmcnt(0)
	s_barrier
	buffer_gl0_inv
	s_and_saveexec_b32 s12, s2
	s_cbranch_execz .LBB6_35
; %bb.34:
	ds_load_b32 v4, v15 offset:3264
	s_waitcnt lgkmcnt(0)
	v_mov_b32_dpp v26, v4 row_shr:1 row_mask:0xf bank_mask:0xf
	s_delay_alu instid0(VALU_DEP_1) | instskip(NEXT) | instid1(VALU_DEP_1)
	v_cndmask_b32_e64 v26, v26, 0, s4
	v_add_nc_u32_e32 v4, v26, v4
	s_delay_alu instid0(VALU_DEP_1) | instskip(NEXT) | instid1(VALU_DEP_1)
	v_mov_b32_dpp v26, v4 row_shr:2 row_mask:0xf bank_mask:0xf
	v_cndmask_b32_e64 v26, 0, v26, s3
	s_delay_alu instid0(VALU_DEP_1)
	v_add_nc_u32_e32 v4, v4, v26
	ds_store_b32 v15, v4 offset:3264
.LBB6_35:
	s_or_b32 exec_lo, exec_lo, s12
	v_lshrrev_b32_e32 v4, 16, v18
	v_dual_mov_b32 v26, 0 :: v_dual_mov_b32 v27, 0
	s_waitcnt lgkmcnt(0)
	s_barrier
	buffer_gl0_inv
	s_and_saveexec_b32 s12, s1
	s_cbranch_execz .LBB6_37
; %bb.36:
	ds_load_b32 v27, v14 offset:3260
.LBB6_37:
	s_or_b32 exec_lo, exec_lo, s12
	s_waitcnt lgkmcnt(0)
	v_add_nc_u32_e32 v25, v27, v25
	ds_load_b32 v26, v26 offset:3276
	ds_bpermute_b32 v25, v13, v25
	s_waitcnt lgkmcnt(0)
	v_cndmask_b32_e64 v25, v25, v27, s0
	s_delay_alu instid0(VALU_DEP_1) | instskip(NEXT) | instid1(VALU_DEP_1)
	v_lshl_add_u32 v25, v26, 16, v25
	v_add_nc_u32_e32 v26, v25, v5
	s_delay_alu instid0(VALU_DEP_1) | instskip(NEXT) | instid1(VALU_DEP_1)
	v_add_nc_u32_e32 v5, v26, v6
	v_add_nc_u32_e32 v6, v5, v7
	s_delay_alu instid0(VALU_DEP_1) | instskip(NEXT) | instid1(VALU_DEP_1)
	v_add_nc_u32_e32 v7, v6, v8
	;; [unrolled: 3-line block ×3, first 2 shown]
	v_add_nc_u32_e32 v2, v1, v3
	ds_store_2addr_b64 v11, v[25:26], v[5:6] offset1:1
	ds_store_2addr_b64 v11, v[7:8], v[1:2] offset0:2 offset1:3
	s_waitcnt lgkmcnt(0)
	s_barrier
	buffer_gl0_inv
	ds_load_u16 v1, v20
	ds_load_u16 v2, v22
	;; [unrolled: 1-line block ×3, first 2 shown]
	v_and_b32_e32 v5, 0xffff, v19
	v_and_b32_e32 v6, 0xffff, v21
	;; [unrolled: 1-line block ×3, first 2 shown]
	s_waitcnt lgkmcnt(0)
	s_barrier
	v_lshlrev_b32_e32 v5, 1, v5
	v_lshlrev_b32_e32 v6, 1, v6
	;; [unrolled: 1-line block ×3, first 2 shown]
	buffer_gl0_inv
	v_lshl_add_u32 v1, v1, 1, v5
	v_lshl_add_u32 v2, v2, 1, v6
	;; [unrolled: 1-line block ×3, first 2 shown]
	ds_store_b16 v1, v18
	ds_store_b16 v2, v4
	;; [unrolled: 1-line block ×3, first 2 shown]
	s_waitcnt lgkmcnt(0)
	s_barrier
	buffer_gl0_inv
	ds_load_u16 v17, v12
	ds_load_u16 v18, v12 offset:2
	ds_load_u16 v19, v12 offset:4
	s_waitcnt lgkmcnt(0)
	s_barrier
	buffer_gl0_inv
	s_and_saveexec_b32 s12, s11
	s_cbranch_execz .LBB6_46
; %bb.38:
	v_mov_b32_e32 v1, 0
	v_cmp_gt_u32_e32 vcc_lo, 0x2ca, v0
	ds_store_b32 v16, v1
	s_and_b32 exec_lo, exec_lo, vcc_lo
	s_cbranch_execz .LBB6_46
; %bb.39:
	v_cmp_gt_u32_e32 vcc_lo, 0x264, v0
	ds_store_b32 v16, v1 offset:408
	s_and_b32 exec_lo, exec_lo, vcc_lo
	s_cbranch_execz .LBB6_46
; %bb.40:
	v_mov_b32_e32 v1, 0
	v_cmp_gt_u32_e32 vcc_lo, 0x1fe, v0
	ds_store_b32 v16, v1 offset:816
	s_and_b32 exec_lo, exec_lo, vcc_lo
	s_cbranch_execz .LBB6_46
; %bb.41:
	v_cmp_gt_u32_e32 vcc_lo, 0x198, v0
	ds_store_b32 v16, v1 offset:1224
	s_and_b32 exec_lo, exec_lo, vcc_lo
	s_cbranch_execz .LBB6_46
; %bb.42:
	v_mov_b32_e32 v1, 0
	v_cmp_gt_u32_e32 vcc_lo, 0x132, v0
	ds_store_b32 v16, v1 offset:1632
	;; [unrolled: 11-line block ×3, first 2 shown]
	s_and_b32 exec_lo, exec_lo, vcc_lo
	s_cbranch_execz .LBB6_46
; %bb.45:
	ds_store_b32 v16, v1 offset:2856
.LBB6_46:
	s_or_b32 exec_lo, exec_lo, s12
	v_lshrrev_b16 v1, 4, v17
	s_delay_alu instid0(VALU_DEP_1) | instskip(NEXT) | instid1(VALU_DEP_1)
	v_and_b32_e32 v1, 0xffff, v1
	v_and_b32_e32 v2, 7, v1
	v_lshrrev_b32_e32 v1, 2, v1
	s_delay_alu instid0(VALU_DEP_2) | instskip(NEXT) | instid1(VALU_DEP_2)
	v_mad_u32_u24 v2, 0x66, v2, v0
	v_and_b32_e32 v1, 2, v1
	s_delay_alu instid0(VALU_DEP_1) | instskip(SKIP_3) | instid1(VALU_DEP_1)
	v_lshl_or_b32 v20, v2, 2, v1
	v_lshrrev_b16 v1, 4, v18
	ds_load_u16 v21, v20
	v_and_b32_e32 v1, 0xffff, v1
	v_and_b32_e32 v2, 7, v1
	v_lshrrev_b32_e32 v1, 2, v1
	s_delay_alu instid0(VALU_DEP_2) | instskip(NEXT) | instid1(VALU_DEP_2)
	v_mad_u32_u24 v2, 0x66, v2, v0
	v_and_b32_e32 v1, 2, v1
	s_delay_alu instid0(VALU_DEP_1) | instskip(SKIP_3) | instid1(VALU_DEP_2)
	v_lshl_or_b32 v22, v2, 2, v1
	v_lshrrev_b16 v1, 4, v19
	s_waitcnt lgkmcnt(0)
	v_add_nc_u16 v3, v21, 1
	v_and_b32_e32 v1, 0xffff, v1
	ds_store_b16 v20, v3
	ds_load_u16 v23, v22
	v_and_b32_e32 v2, 7, v1
	v_lshrrev_b32_e32 v1, 2, v1
	s_delay_alu instid0(VALU_DEP_2) | instskip(NEXT) | instid1(VALU_DEP_2)
	v_mad_u32_u24 v2, 0x66, v2, v0
	v_and_b32_e32 v1, 2, v1
	s_delay_alu instid0(VALU_DEP_1)
	v_lshl_or_b32 v25, v2, 2, v1
	s_waitcnt lgkmcnt(0)
	v_add_nc_u16 v3, v23, 1
	ds_store_b16 v22, v3
	ds_load_u16 v24, v25
	s_waitcnt lgkmcnt(0)
	v_add_nc_u16 v1, v24, 1
	ds_store_b16 v25, v1
	s_waitcnt lgkmcnt(0)
	s_barrier
	buffer_gl0_inv
	ds_load_2addr_b64 v[5:8], v11 offset1:1
	ds_load_2addr_b64 v[1:4], v11 offset0:2 offset1:3
	s_waitcnt lgkmcnt(1)
	v_add_nc_u32_e32 v26, v6, v5
	s_delay_alu instid0(VALU_DEP_1) | instskip(SKIP_1) | instid1(VALU_DEP_1)
	v_add3_u32 v26, v26, v7, v8
	s_waitcnt lgkmcnt(0)
	v_add3_u32 v26, v26, v1, v2
	s_delay_alu instid0(VALU_DEP_1) | instskip(NEXT) | instid1(VALU_DEP_1)
	v_add3_u32 v4, v26, v3, v4
	v_mov_b32_dpp v26, v4 row_shr:1 row_mask:0xf bank_mask:0xf
	s_delay_alu instid0(VALU_DEP_1) | instskip(NEXT) | instid1(VALU_DEP_1)
	v_cndmask_b32_e64 v26, v26, 0, s9
	v_add_nc_u32_e32 v4, v26, v4
	s_delay_alu instid0(VALU_DEP_1) | instskip(NEXT) | instid1(VALU_DEP_1)
	v_mov_b32_dpp v26, v4 row_shr:2 row_mask:0xf bank_mask:0xf
	v_cndmask_b32_e64 v26, 0, v26, s8
	s_delay_alu instid0(VALU_DEP_1) | instskip(NEXT) | instid1(VALU_DEP_1)
	v_add_nc_u32_e32 v4, v4, v26
	v_mov_b32_dpp v26, v4 row_shr:4 row_mask:0xf bank_mask:0xf
	s_delay_alu instid0(VALU_DEP_1) | instskip(NEXT) | instid1(VALU_DEP_1)
	v_cndmask_b32_e64 v26, 0, v26, s7
	v_add_nc_u32_e32 v4, v4, v26
	s_delay_alu instid0(VALU_DEP_1) | instskip(NEXT) | instid1(VALU_DEP_1)
	v_mov_b32_dpp v26, v4 row_shr:8 row_mask:0xf bank_mask:0xf
	v_cndmask_b32_e64 v26, 0, v26, s6
	s_delay_alu instid0(VALU_DEP_1) | instskip(SKIP_3) | instid1(VALU_DEP_1)
	v_add_nc_u32_e32 v4, v4, v26
	ds_swizzle_b32 v26, v4 offset:swizzle(BROADCAST,32,15)
	s_waitcnt lgkmcnt(0)
	v_cndmask_b32_e64 v26, v26, 0, s5
	v_add_nc_u32_e32 v4, v4, v26
	s_and_saveexec_b32 s12, s10
	s_cbranch_execz .LBB6_48
; %bb.47:
	ds_store_b32 v14, v4 offset:3264
.LBB6_48:
	s_or_b32 exec_lo, exec_lo, s12
	s_waitcnt lgkmcnt(0)
	s_barrier
	buffer_gl0_inv
	s_and_saveexec_b32 s12, s2
	s_cbranch_execz .LBB6_50
; %bb.49:
	ds_load_b32 v26, v15 offset:3264
	s_waitcnt lgkmcnt(0)
	v_mov_b32_dpp v27, v26 row_shr:1 row_mask:0xf bank_mask:0xf
	s_delay_alu instid0(VALU_DEP_1) | instskip(NEXT) | instid1(VALU_DEP_1)
	v_cndmask_b32_e64 v27, v27, 0, s4
	v_add_nc_u32_e32 v26, v27, v26
	s_delay_alu instid0(VALU_DEP_1) | instskip(NEXT) | instid1(VALU_DEP_1)
	v_mov_b32_dpp v27, v26 row_shr:2 row_mask:0xf bank_mask:0xf
	v_cndmask_b32_e64 v27, 0, v27, s3
	s_delay_alu instid0(VALU_DEP_1)
	v_add_nc_u32_e32 v26, v26, v27
	ds_store_b32 v15, v26 offset:3264
.LBB6_50:
	s_or_b32 exec_lo, exec_lo, s12
	v_dual_mov_b32 v26, 0 :: v_dual_mov_b32 v27, 0
	s_waitcnt lgkmcnt(0)
	s_barrier
	buffer_gl0_inv
	s_and_saveexec_b32 s12, s1
	s_cbranch_execz .LBB6_52
; %bb.51:
	ds_load_b32 v27, v14 offset:3260
.LBB6_52:
	s_or_b32 exec_lo, exec_lo, s12
	s_waitcnt lgkmcnt(0)
	v_add_nc_u32_e32 v4, v27, v4
	ds_load_b32 v26, v26 offset:3276
	ds_bpermute_b32 v4, v13, v4
	s_waitcnt lgkmcnt(0)
	v_cndmask_b32_e64 v4, v4, v27, s0
	s_delay_alu instid0(VALU_DEP_1) | instskip(NEXT) | instid1(VALU_DEP_1)
	v_lshl_add_u32 v4, v26, 16, v4
	v_add_nc_u32_e32 v5, v4, v5
	s_delay_alu instid0(VALU_DEP_1) | instskip(NEXT) | instid1(VALU_DEP_1)
	v_add_nc_u32_e32 v6, v5, v6
	v_add_nc_u32_e32 v7, v6, v7
	s_delay_alu instid0(VALU_DEP_1) | instskip(NEXT) | instid1(VALU_DEP_1)
	v_add_nc_u32_e32 v26, v7, v8
	v_add_nc_u32_e32 v27, v26, v1
	s_delay_alu instid0(VALU_DEP_1) | instskip(NEXT) | instid1(VALU_DEP_1)
	v_add_nc_u32_e32 v1, v27, v2
	v_add_nc_u32_e32 v2, v1, v3
	ds_store_2addr_b64 v11, v[4:5], v[6:7] offset1:1
	ds_store_2addr_b64 v11, v[26:27], v[1:2] offset0:2 offset1:3
	s_waitcnt lgkmcnt(0)
	s_barrier
	buffer_gl0_inv
	ds_load_u16 v1, v20
	ds_load_u16 v2, v22
	;; [unrolled: 1-line block ×3, first 2 shown]
	v_and_b32_e32 v4, 0xffff, v21
	v_and_b32_e32 v5, 0xffff, v23
	;; [unrolled: 1-line block ×3, first 2 shown]
	s_waitcnt lgkmcnt(0)
	s_barrier
	v_lshlrev_b32_e32 v4, 1, v4
	v_lshlrev_b32_e32 v5, 1, v5
	;; [unrolled: 1-line block ×3, first 2 shown]
	buffer_gl0_inv
	v_lshl_add_u32 v1, v1, 1, v4
	v_lshl_add_u32 v2, v2, 1, v5
	;; [unrolled: 1-line block ×3, first 2 shown]
	ds_store_b16 v1, v17
	ds_store_b16 v2, v18
	;; [unrolled: 1-line block ×3, first 2 shown]
	s_waitcnt lgkmcnt(0)
	s_barrier
	buffer_gl0_inv
	ds_load_u16 v17, v12
	ds_load_u16 v18, v12 offset:2
	ds_load_u16 v19, v12 offset:4
	s_waitcnt lgkmcnt(0)
	s_barrier
	buffer_gl0_inv
	s_and_saveexec_b32 s12, s11
	s_cbranch_execz .LBB6_61
; %bb.53:
	v_mov_b32_e32 v1, 0
	v_cmp_gt_u32_e32 vcc_lo, 0x2ca, v0
	ds_store_b32 v16, v1
	s_and_b32 exec_lo, exec_lo, vcc_lo
	s_cbranch_execz .LBB6_61
; %bb.54:
	v_cmp_gt_u32_e32 vcc_lo, 0x264, v0
	ds_store_b32 v16, v1 offset:408
	s_and_b32 exec_lo, exec_lo, vcc_lo
	s_cbranch_execz .LBB6_61
; %bb.55:
	v_mov_b32_e32 v1, 0
	v_cmp_gt_u32_e32 vcc_lo, 0x1fe, v0
	ds_store_b32 v16, v1 offset:816
	s_and_b32 exec_lo, exec_lo, vcc_lo
	s_cbranch_execz .LBB6_61
; %bb.56:
	v_cmp_gt_u32_e32 vcc_lo, 0x198, v0
	ds_store_b32 v16, v1 offset:1224
	s_and_b32 exec_lo, exec_lo, vcc_lo
	s_cbranch_execz .LBB6_61
; %bb.57:
	v_mov_b32_e32 v1, 0
	v_cmp_gt_u32_e32 vcc_lo, 0x132, v0
	ds_store_b32 v16, v1 offset:1632
	;; [unrolled: 11-line block ×3, first 2 shown]
	s_and_b32 exec_lo, exec_lo, vcc_lo
	s_cbranch_execz .LBB6_61
; %bb.60:
	ds_store_b32 v16, v1 offset:2856
.LBB6_61:
	s_or_b32 exec_lo, exec_lo, s12
	v_lshrrev_b16 v1, 8, v17
	s_delay_alu instid0(VALU_DEP_1) | instskip(NEXT) | instid1(VALU_DEP_1)
	v_and_b32_e32 v1, 0xffff, v1
	v_and_b32_e32 v2, 7, v1
	v_lshrrev_b32_e32 v1, 2, v1
	s_delay_alu instid0(VALU_DEP_2) | instskip(NEXT) | instid1(VALU_DEP_2)
	v_mad_u32_u24 v2, 0x66, v2, v0
	v_and_b32_e32 v1, 2, v1
	s_delay_alu instid0(VALU_DEP_1) | instskip(SKIP_3) | instid1(VALU_DEP_1)
	v_lshl_or_b32 v20, v2, 2, v1
	v_lshrrev_b16 v1, 8, v18
	ds_load_u16 v21, v20
	v_and_b32_e32 v1, 0xffff, v1
	v_and_b32_e32 v2, 7, v1
	v_lshrrev_b32_e32 v1, 2, v1
	s_delay_alu instid0(VALU_DEP_2) | instskip(NEXT) | instid1(VALU_DEP_2)
	v_mad_u32_u24 v2, 0x66, v2, v0
	v_and_b32_e32 v1, 2, v1
	s_delay_alu instid0(VALU_DEP_1) | instskip(SKIP_3) | instid1(VALU_DEP_2)
	v_lshl_or_b32 v22, v2, 2, v1
	v_lshrrev_b16 v1, 8, v19
	s_waitcnt lgkmcnt(0)
	v_add_nc_u16 v3, v21, 1
	v_and_b32_e32 v1, 0xffff, v1
	ds_store_b16 v20, v3
	ds_load_u16 v23, v22
	v_and_b32_e32 v2, 7, v1
	v_lshrrev_b32_e32 v1, 2, v1
	s_delay_alu instid0(VALU_DEP_2) | instskip(NEXT) | instid1(VALU_DEP_2)
	v_mad_u32_u24 v2, 0x66, v2, v0
	v_and_b32_e32 v1, 2, v1
	s_delay_alu instid0(VALU_DEP_1)
	v_lshl_or_b32 v25, v2, 2, v1
	s_waitcnt lgkmcnt(0)
	v_add_nc_u16 v3, v23, 1
	ds_store_b16 v22, v3
	ds_load_u16 v24, v25
	s_waitcnt lgkmcnt(0)
	v_add_nc_u16 v1, v24, 1
	ds_store_b16 v25, v1
	s_waitcnt lgkmcnt(0)
	s_barrier
	buffer_gl0_inv
	ds_load_2addr_b64 v[5:8], v11 offset1:1
	ds_load_2addr_b64 v[1:4], v11 offset0:2 offset1:3
	s_waitcnt lgkmcnt(1)
	v_add_nc_u32_e32 v26, v6, v5
	s_delay_alu instid0(VALU_DEP_1) | instskip(SKIP_1) | instid1(VALU_DEP_1)
	v_add3_u32 v26, v26, v7, v8
	s_waitcnt lgkmcnt(0)
	v_add3_u32 v26, v26, v1, v2
	s_delay_alu instid0(VALU_DEP_1) | instskip(NEXT) | instid1(VALU_DEP_1)
	v_add3_u32 v4, v26, v3, v4
	v_mov_b32_dpp v26, v4 row_shr:1 row_mask:0xf bank_mask:0xf
	s_delay_alu instid0(VALU_DEP_1) | instskip(NEXT) | instid1(VALU_DEP_1)
	v_cndmask_b32_e64 v26, v26, 0, s9
	v_add_nc_u32_e32 v4, v26, v4
	s_delay_alu instid0(VALU_DEP_1) | instskip(NEXT) | instid1(VALU_DEP_1)
	v_mov_b32_dpp v26, v4 row_shr:2 row_mask:0xf bank_mask:0xf
	v_cndmask_b32_e64 v26, 0, v26, s8
	s_delay_alu instid0(VALU_DEP_1) | instskip(NEXT) | instid1(VALU_DEP_1)
	v_add_nc_u32_e32 v4, v4, v26
	v_mov_b32_dpp v26, v4 row_shr:4 row_mask:0xf bank_mask:0xf
	s_delay_alu instid0(VALU_DEP_1) | instskip(NEXT) | instid1(VALU_DEP_1)
	v_cndmask_b32_e64 v26, 0, v26, s7
	v_add_nc_u32_e32 v4, v4, v26
	s_delay_alu instid0(VALU_DEP_1) | instskip(NEXT) | instid1(VALU_DEP_1)
	v_mov_b32_dpp v26, v4 row_shr:8 row_mask:0xf bank_mask:0xf
	v_cndmask_b32_e64 v26, 0, v26, s6
	s_delay_alu instid0(VALU_DEP_1) | instskip(SKIP_3) | instid1(VALU_DEP_1)
	v_add_nc_u32_e32 v4, v4, v26
	ds_swizzle_b32 v26, v4 offset:swizzle(BROADCAST,32,15)
	s_waitcnt lgkmcnt(0)
	v_cndmask_b32_e64 v26, v26, 0, s5
	v_add_nc_u32_e32 v4, v4, v26
	s_and_saveexec_b32 s12, s10
	s_cbranch_execz .LBB6_63
; %bb.62:
	ds_store_b32 v14, v4 offset:3264
.LBB6_63:
	s_or_b32 exec_lo, exec_lo, s12
	s_waitcnt lgkmcnt(0)
	s_barrier
	buffer_gl0_inv
	s_and_saveexec_b32 s12, s2
	s_cbranch_execz .LBB6_65
; %bb.64:
	ds_load_b32 v26, v15 offset:3264
	s_waitcnt lgkmcnt(0)
	v_mov_b32_dpp v27, v26 row_shr:1 row_mask:0xf bank_mask:0xf
	s_delay_alu instid0(VALU_DEP_1) | instskip(NEXT) | instid1(VALU_DEP_1)
	v_cndmask_b32_e64 v27, v27, 0, s4
	v_add_nc_u32_e32 v26, v27, v26
	s_delay_alu instid0(VALU_DEP_1) | instskip(NEXT) | instid1(VALU_DEP_1)
	v_mov_b32_dpp v27, v26 row_shr:2 row_mask:0xf bank_mask:0xf
	v_cndmask_b32_e64 v27, 0, v27, s3
	s_delay_alu instid0(VALU_DEP_1)
	v_add_nc_u32_e32 v26, v26, v27
	ds_store_b32 v15, v26 offset:3264
.LBB6_65:
	s_or_b32 exec_lo, exec_lo, s12
	v_dual_mov_b32 v26, 0 :: v_dual_mov_b32 v27, 0
	s_waitcnt lgkmcnt(0)
	s_barrier
	buffer_gl0_inv
	s_and_saveexec_b32 s12, s1
	s_cbranch_execz .LBB6_67
; %bb.66:
	ds_load_b32 v27, v14 offset:3260
.LBB6_67:
	s_or_b32 exec_lo, exec_lo, s12
	s_waitcnt lgkmcnt(0)
	v_add_nc_u32_e32 v4, v27, v4
	ds_load_b32 v26, v26 offset:3276
	ds_bpermute_b32 v4, v13, v4
	s_waitcnt lgkmcnt(0)
	v_cndmask_b32_e64 v4, v4, v27, s0
	s_delay_alu instid0(VALU_DEP_1) | instskip(NEXT) | instid1(VALU_DEP_1)
	v_lshl_add_u32 v4, v26, 16, v4
	v_add_nc_u32_e32 v5, v4, v5
	s_delay_alu instid0(VALU_DEP_1) | instskip(NEXT) | instid1(VALU_DEP_1)
	v_add_nc_u32_e32 v6, v5, v6
	v_add_nc_u32_e32 v7, v6, v7
	s_delay_alu instid0(VALU_DEP_1) | instskip(NEXT) | instid1(VALU_DEP_1)
	v_add_nc_u32_e32 v26, v7, v8
	;; [unrolled: 3-line block ×3, first 2 shown]
	v_add_nc_u32_e32 v2, v1, v3
	ds_store_2addr_b64 v11, v[4:5], v[6:7] offset1:1
	ds_store_2addr_b64 v11, v[26:27], v[1:2] offset0:2 offset1:3
	s_waitcnt lgkmcnt(0)
	s_barrier
	buffer_gl0_inv
	ds_load_u16 v1, v20
	ds_load_u16 v2, v22
	;; [unrolled: 1-line block ×3, first 2 shown]
	v_and_b32_e32 v4, 0xffff, v21
	v_and_b32_e32 v5, 0xffff, v23
	;; [unrolled: 1-line block ×3, first 2 shown]
	s_waitcnt lgkmcnt(0)
	s_barrier
	v_lshlrev_b32_e32 v4, 1, v4
	v_lshlrev_b32_e32 v5, 1, v5
	v_lshlrev_b32_e32 v6, 1, v6
	buffer_gl0_inv
	v_lshl_add_u32 v1, v1, 1, v4
	v_lshl_add_u32 v2, v2, 1, v5
	;; [unrolled: 1-line block ×3, first 2 shown]
	ds_store_b16 v1, v17
	ds_store_b16 v2, v18
	;; [unrolled: 1-line block ×3, first 2 shown]
	s_waitcnt lgkmcnt(0)
	s_barrier
	buffer_gl0_inv
	ds_load_u16 v8, v12
	ds_load_u16 v17, v12 offset:2
	ds_load_u16 v18, v12 offset:4
	s_waitcnt lgkmcnt(0)
	s_barrier
	buffer_gl0_inv
	s_and_saveexec_b32 s12, s11
	s_cbranch_execz .LBB6_76
; %bb.68:
	v_mov_b32_e32 v1, 0
	v_cmp_gt_u32_e32 vcc_lo, 0x2ca, v0
	ds_store_b32 v16, v1
	s_and_b32 exec_lo, exec_lo, vcc_lo
	s_cbranch_execz .LBB6_76
; %bb.69:
	v_cmp_gt_u32_e32 vcc_lo, 0x264, v0
	ds_store_b32 v16, v1 offset:408
	s_and_b32 exec_lo, exec_lo, vcc_lo
	s_cbranch_execz .LBB6_76
; %bb.70:
	v_mov_b32_e32 v1, 0
	v_cmp_gt_u32_e32 vcc_lo, 0x1fe, v0
	ds_store_b32 v16, v1 offset:816
	s_and_b32 exec_lo, exec_lo, vcc_lo
	s_cbranch_execz .LBB6_76
; %bb.71:
	v_cmp_gt_u32_e32 vcc_lo, 0x198, v0
	ds_store_b32 v16, v1 offset:1224
	s_and_b32 exec_lo, exec_lo, vcc_lo
	s_cbranch_execz .LBB6_76
; %bb.72:
	v_mov_b32_e32 v1, 0
	v_cmp_gt_u32_e32 vcc_lo, 0x132, v0
	ds_store_b32 v16, v1 offset:1632
	;; [unrolled: 11-line block ×3, first 2 shown]
	s_and_b32 exec_lo, exec_lo, vcc_lo
	s_cbranch_execz .LBB6_76
; %bb.75:
	ds_store_b32 v16, v1 offset:2856
.LBB6_76:
	s_or_b32 exec_lo, exec_lo, s12
	v_lshrrev_b16 v1, 12, v8
	s_delay_alu instid0(VALU_DEP_1) | instskip(NEXT) | instid1(VALU_DEP_1)
	v_and_b32_e32 v1, 0xffff, v1
	v_and_b32_e32 v2, 7, v1
	v_lshrrev_b32_e32 v1, 2, v1
	s_delay_alu instid0(VALU_DEP_2) | instskip(NEXT) | instid1(VALU_DEP_2)
	v_mad_u32_u24 v2, 0x66, v2, v0
	v_and_b32_e32 v1, 2, v1
	s_delay_alu instid0(VALU_DEP_1) | instskip(SKIP_3) | instid1(VALU_DEP_1)
	v_lshl_or_b32 v16, v2, 2, v1
	v_lshrrev_b16 v1, 12, v17
	ds_load_u16 v19, v16
	v_and_b32_e32 v1, 0xffff, v1
	v_and_b32_e32 v2, 7, v1
	v_lshrrev_b32_e32 v1, 2, v1
	s_delay_alu instid0(VALU_DEP_2) | instskip(NEXT) | instid1(VALU_DEP_2)
	v_mad_u32_u24 v2, 0x66, v2, v0
	v_and_b32_e32 v1, 2, v1
	s_delay_alu instid0(VALU_DEP_1) | instskip(SKIP_3) | instid1(VALU_DEP_2)
	v_lshl_or_b32 v20, v2, 2, v1
	v_lshrrev_b16 v1, 12, v18
	s_waitcnt lgkmcnt(0)
	v_add_nc_u16 v3, v19, 1
	v_and_b32_e32 v1, 0xffff, v1
	ds_store_b16 v16, v3
	ds_load_u16 v21, v20
	v_and_b32_e32 v2, 7, v1
	v_lshrrev_b32_e32 v1, 2, v1
	s_delay_alu instid0(VALU_DEP_2) | instskip(NEXT) | instid1(VALU_DEP_2)
	v_mad_u32_u24 v0, 0x66, v2, v0
	v_and_b32_e32 v1, 2, v1
	s_delay_alu instid0(VALU_DEP_1)
	v_lshl_or_b32 v23, v0, 2, v1
	s_waitcnt lgkmcnt(0)
	v_add_nc_u16 v2, v21, 1
	ds_store_b16 v20, v2
	ds_load_u16 v22, v23
	s_waitcnt lgkmcnt(0)
	v_add_nc_u16 v0, v22, 1
	ds_store_b16 v23, v0
	s_waitcnt lgkmcnt(0)
	s_barrier
	buffer_gl0_inv
	ds_load_2addr_b64 v[4:7], v11 offset1:1
	ds_load_2addr_b64 v[0:3], v11 offset0:2 offset1:3
	s_waitcnt lgkmcnt(1)
	v_add_nc_u32_e32 v24, v5, v4
	s_delay_alu instid0(VALU_DEP_1) | instskip(SKIP_1) | instid1(VALU_DEP_1)
	v_add3_u32 v24, v24, v6, v7
	s_waitcnt lgkmcnt(0)
	v_add3_u32 v24, v24, v0, v1
	s_delay_alu instid0(VALU_DEP_1) | instskip(NEXT) | instid1(VALU_DEP_1)
	v_add3_u32 v3, v24, v2, v3
	v_mov_b32_dpp v24, v3 row_shr:1 row_mask:0xf bank_mask:0xf
	s_delay_alu instid0(VALU_DEP_1) | instskip(NEXT) | instid1(VALU_DEP_1)
	v_cndmask_b32_e64 v24, v24, 0, s9
	v_add_nc_u32_e32 v3, v24, v3
	s_delay_alu instid0(VALU_DEP_1) | instskip(NEXT) | instid1(VALU_DEP_1)
	v_mov_b32_dpp v24, v3 row_shr:2 row_mask:0xf bank_mask:0xf
	v_cndmask_b32_e64 v24, 0, v24, s8
	s_delay_alu instid0(VALU_DEP_1) | instskip(NEXT) | instid1(VALU_DEP_1)
	v_add_nc_u32_e32 v3, v3, v24
	v_mov_b32_dpp v24, v3 row_shr:4 row_mask:0xf bank_mask:0xf
	s_delay_alu instid0(VALU_DEP_1) | instskip(NEXT) | instid1(VALU_DEP_1)
	v_cndmask_b32_e64 v24, 0, v24, s7
	v_add_nc_u32_e32 v3, v3, v24
	s_delay_alu instid0(VALU_DEP_1) | instskip(NEXT) | instid1(VALU_DEP_1)
	v_mov_b32_dpp v24, v3 row_shr:8 row_mask:0xf bank_mask:0xf
	v_cndmask_b32_e64 v24, 0, v24, s6
	s_delay_alu instid0(VALU_DEP_1) | instskip(SKIP_3) | instid1(VALU_DEP_1)
	v_add_nc_u32_e32 v3, v3, v24
	ds_swizzle_b32 v24, v3 offset:swizzle(BROADCAST,32,15)
	s_waitcnt lgkmcnt(0)
	v_cndmask_b32_e64 v24, v24, 0, s5
	v_add_nc_u32_e32 v3, v3, v24
	s_and_saveexec_b32 s5, s10
	s_cbranch_execz .LBB6_78
; %bb.77:
	ds_store_b32 v14, v3 offset:3264
.LBB6_78:
	s_or_b32 exec_lo, exec_lo, s5
	s_waitcnt lgkmcnt(0)
	s_barrier
	buffer_gl0_inv
	s_and_saveexec_b32 s5, s2
	s_cbranch_execz .LBB6_80
; %bb.79:
	ds_load_b32 v24, v15 offset:3264
	s_waitcnt lgkmcnt(0)
	v_mov_b32_dpp v25, v24 row_shr:1 row_mask:0xf bank_mask:0xf
	s_delay_alu instid0(VALU_DEP_1) | instskip(NEXT) | instid1(VALU_DEP_1)
	v_cndmask_b32_e64 v25, v25, 0, s4
	v_add_nc_u32_e32 v24, v25, v24
	s_delay_alu instid0(VALU_DEP_1) | instskip(NEXT) | instid1(VALU_DEP_1)
	v_mov_b32_dpp v25, v24 row_shr:2 row_mask:0xf bank_mask:0xf
	v_cndmask_b32_e64 v25, 0, v25, s3
	s_delay_alu instid0(VALU_DEP_1)
	v_add_nc_u32_e32 v24, v24, v25
	ds_store_b32 v15, v24 offset:3264
.LBB6_80:
	s_or_b32 exec_lo, exec_lo, s5
	v_dual_mov_b32 v15, 0 :: v_dual_mov_b32 v24, 0
	s_waitcnt lgkmcnt(0)
	s_barrier
	buffer_gl0_inv
	s_and_saveexec_b32 s2, s1
	s_cbranch_execz .LBB6_82
; %bb.81:
	ds_load_b32 v24, v14 offset:3260
.LBB6_82:
	s_or_b32 exec_lo, exec_lo, s2
	s_waitcnt lgkmcnt(0)
	v_add_nc_u32_e32 v3, v24, v3
	ds_bpermute_b32 v3, v13, v3
	ds_load_b32 v13, v15 offset:3276
	s_waitcnt lgkmcnt(1)
	v_cndmask_b32_e64 v3, v3, v24, s0
	s_waitcnt lgkmcnt(0)
	s_delay_alu instid0(VALU_DEP_1) | instskip(NEXT) | instid1(VALU_DEP_1)
	v_lshl_add_u32 v3, v13, 16, v3
	v_add_nc_u32_e32 v4, v3, v4
	s_delay_alu instid0(VALU_DEP_1) | instskip(NEXT) | instid1(VALU_DEP_1)
	v_add_nc_u32_e32 v5, v4, v5
	v_add_nc_u32_e32 v6, v5, v6
	s_delay_alu instid0(VALU_DEP_1) | instskip(NEXT) | instid1(VALU_DEP_1)
	v_add_nc_u32_e32 v13, v6, v7
	;; [unrolled: 3-line block ×3, first 2 shown]
	v_add_nc_u32_e32 v1, v0, v2
	ds_store_2addr_b64 v11, v[3:4], v[5:6] offset1:1
	ds_store_2addr_b64 v11, v[13:14], v[0:1] offset0:2 offset1:3
	s_waitcnt lgkmcnt(0)
	s_barrier
	buffer_gl0_inv
	ds_load_u16 v0, v16
	ds_load_u16 v1, v20
	;; [unrolled: 1-line block ×3, first 2 shown]
	v_and_b32_e32 v3, 0xffff, v19
	v_and_b32_e32 v4, 0xffff, v21
	;; [unrolled: 1-line block ×3, first 2 shown]
	s_waitcnt lgkmcnt(0)
	s_barrier
	v_lshlrev_b32_e32 v3, 1, v3
	v_lshlrev_b32_e32 v4, 1, v4
	;; [unrolled: 1-line block ×3, first 2 shown]
	buffer_gl0_inv
	v_lshl_add_u32 v0, v0, 1, v3
	v_lshl_add_u32 v1, v1, 1, v4
	;; [unrolled: 1-line block ×3, first 2 shown]
	ds_store_b16 v0, v8
	ds_store_b16 v1, v17
	ds_store_b16 v2, v18
	s_waitcnt lgkmcnt(0)
	s_barrier
.LBB6_83:
	buffer_gl0_inv
	ds_load_u16 v0, v12 offset:4
	ds_load_b32 v1, v12
	s_waitcnt lgkmcnt(1)
	v_xor_b32_e32 v0, -1, v0
	s_waitcnt lgkmcnt(0)
	v_xor_b32_e32 v1, -1, v1
	s_clause 0x1
	global_store_b16 v[9:10], v0, off offset:4
	global_store_b32 v[9:10], v1, off
	s_nop 0
	s_sendmsg sendmsg(MSG_DEALLOC_VGPRS)
	s_endpgm
	.section	.rodata,"a",@progbits
	.p2align	6, 0x0
	.amdhsa_kernel _Z15sort_key_kernelILj102ELj3ELb0ELb1EtEvPT3_jj
		.amdhsa_group_segment_fixed_size 3280
		.amdhsa_private_segment_fixed_size 0
		.amdhsa_kernarg_size 16
		.amdhsa_user_sgpr_count 15
		.amdhsa_user_sgpr_dispatch_ptr 0
		.amdhsa_user_sgpr_queue_ptr 0
		.amdhsa_user_sgpr_kernarg_segment_ptr 1
		.amdhsa_user_sgpr_dispatch_id 0
		.amdhsa_user_sgpr_private_segment_size 0
		.amdhsa_wavefront_size32 1
		.amdhsa_uses_dynamic_stack 0
		.amdhsa_enable_private_segment 0
		.amdhsa_system_sgpr_workgroup_id_x 1
		.amdhsa_system_sgpr_workgroup_id_y 0
		.amdhsa_system_sgpr_workgroup_id_z 0
		.amdhsa_system_sgpr_workgroup_info 0
		.amdhsa_system_vgpr_workitem_id 0
		.amdhsa_next_free_vgpr 32
		.amdhsa_next_free_sgpr 24
		.amdhsa_reserve_vcc 1
		.amdhsa_float_round_mode_32 0
		.amdhsa_float_round_mode_16_64 0
		.amdhsa_float_denorm_mode_32 3
		.amdhsa_float_denorm_mode_16_64 3
		.amdhsa_dx10_clamp 1
		.amdhsa_ieee_mode 1
		.amdhsa_fp16_overflow 0
		.amdhsa_workgroup_processor_mode 1
		.amdhsa_memory_ordered 1
		.amdhsa_forward_progress 0
		.amdhsa_shared_vgpr_count 0
		.amdhsa_exception_fp_ieee_invalid_op 0
		.amdhsa_exception_fp_denorm_src 0
		.amdhsa_exception_fp_ieee_div_zero 0
		.amdhsa_exception_fp_ieee_overflow 0
		.amdhsa_exception_fp_ieee_underflow 0
		.amdhsa_exception_fp_ieee_inexact 0
		.amdhsa_exception_int_div_zero 0
	.end_amdhsa_kernel
	.section	.text._Z15sort_key_kernelILj102ELj3ELb0ELb1EtEvPT3_jj,"axG",@progbits,_Z15sort_key_kernelILj102ELj3ELb0ELb1EtEvPT3_jj,comdat
.Lfunc_end6:
	.size	_Z15sort_key_kernelILj102ELj3ELb0ELb1EtEvPT3_jj, .Lfunc_end6-_Z15sort_key_kernelILj102ELj3ELb0ELb1EtEvPT3_jj
                                        ; -- End function
	.section	.AMDGPU.csdata,"",@progbits
; Kernel info:
; codeLenInByte = 6092
; NumSgprs: 26
; NumVgprs: 32
; ScratchSize: 0
; MemoryBound: 0
; FloatMode: 240
; IeeeMode: 1
; LDSByteSize: 3280 bytes/workgroup (compile time only)
; SGPRBlocks: 3
; VGPRBlocks: 3
; NumSGPRsForWavesPerEU: 26
; NumVGPRsForWavesPerEU: 32
; Occupancy: 16
; WaveLimiterHint : 0
; COMPUTE_PGM_RSRC2:SCRATCH_EN: 0
; COMPUTE_PGM_RSRC2:USER_SGPR: 15
; COMPUTE_PGM_RSRC2:TRAP_HANDLER: 0
; COMPUTE_PGM_RSRC2:TGID_X_EN: 1
; COMPUTE_PGM_RSRC2:TGID_Y_EN: 0
; COMPUTE_PGM_RSRC2:TGID_Z_EN: 0
; COMPUTE_PGM_RSRC2:TIDIG_COMP_CNT: 0
	.section	.text._Z15sort_key_kernelILj64ELj1ELb0ELb0EyEvPT3_jj,"axG",@progbits,_Z15sort_key_kernelILj64ELj1ELb0ELb0EyEvPT3_jj,comdat
	.protected	_Z15sort_key_kernelILj64ELj1ELb0ELb0EyEvPT3_jj ; -- Begin function _Z15sort_key_kernelILj64ELj1ELb0ELb0EyEvPT3_jj
	.globl	_Z15sort_key_kernelILj64ELj1ELb0ELb0EyEvPT3_jj
	.p2align	8
	.type	_Z15sort_key_kernelILj64ELj1ELb0ELb0EyEvPT3_jj,@function
_Z15sort_key_kernelILj64ELj1ELb0ELb0EyEvPT3_jj: ; @_Z15sort_key_kernelILj64ELj1ELb0ELb0EyEvPT3_jj
; %bb.0:
	s_clause 0x1
	s_load_b128 s[16:19], s[0:1], 0x0
	s_load_b32 s4, s[0:1], 0x1c
	v_and_b32_e32 v1, 0x3ff, v0
	s_lshl_b32 s12, s15, 6
	s_mov_b32 s13, 0
	v_bfe_u32 v2, v0, 10, 10
	s_lshl_b64 s[2:3], s[12:13], 3
	v_lshlrev_b32_e32 v18, 3, v1
	v_bfe_u32 v0, v0, 20, 10
	v_mbcnt_lo_u32_b32 v4, -1, 0
	v_cmp_gt_u32_e64 s6, 2, v1
	v_cmp_lt_u32_e64 s7, 31, v1
	v_cmp_eq_u32_e64 s9, 0, v1
	s_delay_alu instid0(VALU_DEP_4) | instskip(SKIP_1) | instid1(VALU_DEP_2)
	v_add_nc_u32_e32 v5, -1, v4
	v_cmp_eq_u32_e64 s8, 0, v4
	v_cmp_gt_i32_e32 vcc_lo, 0, v5
	s_waitcnt lgkmcnt(0)
	s_add_u32 s0, s16, s2
	s_addc_u32 s1, s17, s3
	s_cmp_eq_u32 s18, 0
	global_load_b64 v[10:11], v18, s[0:1]
	s_cselect_b32 s2, -1, 0
	s_cmp_eq_u32 s19, 64
	v_add_co_u32 v8, s0, s0, v18
	s_cselect_b32 s3, -1, 0
	s_lshr_b32 s5, s4, 16
	s_and_b32 s4, s4, 0xffff
	v_mad_u32_u24 v0, v0, s5, v2
	v_lshlrev_b32_e32 v19, 5, v1
	v_add_co_ci_u32_e64 v9, null, s1, 0, s0
	s_and_b32 s11, s2, s3
	s_delay_alu instid0(VALU_DEP_3) | instskip(SKIP_2) | instid1(VALU_DEP_2)
	v_mad_u64_u32 v[2:3], null, v0, s4, v[1:2]
	v_and_b32_e32 v0, 15, v4
	v_and_b32_e32 v3, 16, v4
	v_cmp_eq_u32_e64 s0, 0, v0
	s_delay_alu instid0(VALU_DEP_4)
	v_lshrrev_b32_e32 v21, 5, v2
	v_and_b32_e32 v2, 32, v1
	v_cmp_lt_u32_e64 s1, 1, v0
	v_cmp_lt_u32_e64 s2, 3, v0
	;; [unrolled: 1-line block ×3, first 2 shown]
	v_cndmask_b32_e32 v0, v5, v4, vcc_lo
	v_or_b32_e32 v6, 31, v2
	v_cmp_eq_u32_e64 s4, 0, v3
	v_lshrrev_b32_e32 v3, 3, v1
	v_or_b32_e32 v2, v4, v2
	v_lshlrev_b32_e32 v22, 2, v0
	v_cmp_eq_u32_e64 s5, v6, v1
	v_and_b32_e32 v0, 1, v4
	v_and_b32_e32 v23, 4, v3
	v_mul_i32_i24_e32 v1, 0xffffffe4, v1
	v_or_b32_e32 v20, 8, v19
	v_lshlrev_b32_e32 v25, 3, v2
	v_cmp_eq_u32_e64 s10, 0, v0
	v_add_nc_u32_e32 v24, -4, v23
	v_add_nc_u32_e32 v26, v19, v1
	s_and_b32 vcc_lo, exec_lo, s11
	s_mov_b32 s11, -1
	s_cbranch_vccz .LBB7_3
; %bb.1:
	s_and_b32 vcc_lo, exec_lo, s11
	s_cbranch_vccnz .LBB7_16
.LBB7_2:
	s_waitcnt vmcnt(0)
	buffer_gl0_inv
	ds_load_b64 v[0:1], v18
	s_waitcnt lgkmcnt(0)
	global_store_b64 v[8:9], v[0:1], off
	s_nop 0
	s_sendmsg sendmsg(MSG_DEALLOC_VGPRS)
	s_endpgm
.LBB7_3:
	s_mov_b32 s12, s13
	s_mov_b32 s14, s13
	;; [unrolled: 1-line block ×3, first 2 shown]
	v_dual_mov_b32 v12, s12 :: v_dual_mov_b32 v13, s13
	v_dual_mov_b32 v14, s14 :: v_dual_mov_b32 v15, s15
	s_waitcnt vmcnt(0)
	v_dual_mov_b32 v0, v10 :: v_dual_mov_b32 v1, v11
	s_sub_i32 s12, s19, s18
	s_branch .LBB7_5
.LBB7_4:                                ;   in Loop: Header=BB7_5 Depth=1
	s_barrier
	buffer_gl0_inv
	ds_store_b64 v2, v[16:17]
	s_waitcnt lgkmcnt(0)
	s_barrier
	buffer_gl0_inv
	ds_load_b64 v[0:1], v25
	s_add_i32 s12, s12, -8
	s_waitcnt lgkmcnt(0)
	s_barrier
	buffer_gl0_inv
	s_cbranch_execz .LBB7_15
.LBB7_5:                                ; =>This Inner Loop Header: Depth=1
	s_delay_alu instid0(VALU_DEP_1)
	v_dual_mov_b32 v17, v1 :: v_dual_mov_b32 v16, v0
	s_min_u32 s11, s12, 8
	ds_store_2addr_b64 v19, v[12:13], v[14:15] offset0:1 offset1:2
	ds_store_2addr_b64 v20, v[12:13], v[14:15] offset0:2 offset1:3
	s_waitcnt lgkmcnt(0)
	s_barrier
	v_lshrrev_b64 v[0:1], s18, v[16:17]
	buffer_gl0_inv
	; wave barrier
	v_bfe_u32 v1, v0, 0, s11
	s_delay_alu instid0(VALU_DEP_1)
	v_and_b32_e32 v0, 1, v1
	v_lshlrev_b32_e32 v2, 30, v1
	v_lshlrev_b32_e32 v3, 29, v1
	;; [unrolled: 1-line block ×4, first 2 shown]
	v_add_co_u32 v0, s11, v0, -1
	s_delay_alu instid0(VALU_DEP_1)
	v_cndmask_b32_e64 v5, 0, 1, s11
	v_not_b32_e32 v28, v2
	v_cmp_gt_i32_e64 s11, 0, v2
	v_not_b32_e32 v2, v3
	v_lshlrev_b32_e32 v7, 26, v1
	v_cmp_ne_u32_e32 vcc_lo, 0, v5
	v_ashrrev_i32_e32 v28, 31, v28
	v_lshlrev_b32_e32 v27, 25, v1
	v_ashrrev_i32_e32 v2, 31, v2
	v_lshlrev_b32_e32 v5, 24, v1
	v_xor_b32_e32 v0, vcc_lo, v0
	v_cmp_gt_i32_e32 vcc_lo, 0, v3
	v_not_b32_e32 v3, v4
	v_xor_b32_e32 v28, s11, v28
	v_cmp_gt_i32_e64 s11, 0, v4
	v_and_b32_e32 v0, exec_lo, v0
	v_not_b32_e32 v4, v6
	v_ashrrev_i32_e32 v3, 31, v3
	v_xor_b32_e32 v2, vcc_lo, v2
	v_cmp_gt_i32_e32 vcc_lo, 0, v6
	v_and_b32_e32 v0, v0, v28
	v_not_b32_e32 v6, v7
	v_ashrrev_i32_e32 v4, 31, v4
	v_xor_b32_e32 v3, s11, v3
	v_cmp_gt_i32_e64 s11, 0, v7
	v_and_b32_e32 v0, v0, v2
	v_not_b32_e32 v2, v27
	v_ashrrev_i32_e32 v6, 31, v6
	v_xor_b32_e32 v4, vcc_lo, v4
	v_cmp_gt_i32_e32 vcc_lo, 0, v27
	v_and_b32_e32 v0, v0, v3
	v_not_b32_e32 v3, v5
	v_ashrrev_i32_e32 v2, 31, v2
	v_xor_b32_e32 v6, s11, v6
	v_cmp_gt_i32_e64 s11, 0, v5
	v_and_b32_e32 v0, v0, v4
	v_ashrrev_i32_e32 v3, 31, v3
	v_xor_b32_e32 v2, vcc_lo, v2
	v_lshl_add_u32 v1, v1, 1, v21
	s_delay_alu instid0(VALU_DEP_4) | instskip(NEXT) | instid1(VALU_DEP_4)
	v_and_b32_e32 v0, v0, v6
	v_xor_b32_e32 v3, s11, v3
	s_delay_alu instid0(VALU_DEP_3) | instskip(NEXT) | instid1(VALU_DEP_3)
	v_lshl_add_u32 v28, v1, 2, 8
	v_and_b32_e32 v0, v0, v2
	s_delay_alu instid0(VALU_DEP_1) | instskip(NEXT) | instid1(VALU_DEP_1)
	v_and_b32_e32 v0, v0, v3
	v_mbcnt_lo_u32_b32 v27, v0, 0
	v_cmp_ne_u32_e64 s11, 0, v0
	s_delay_alu instid0(VALU_DEP_2) | instskip(NEXT) | instid1(VALU_DEP_2)
	v_cmp_eq_u32_e32 vcc_lo, 0, v27
	s_and_b32 s13, s11, vcc_lo
	s_delay_alu instid0(SALU_CYCLE_1)
	s_and_saveexec_b32 s11, s13
	s_cbranch_execz .LBB7_7
; %bb.6:                                ;   in Loop: Header=BB7_5 Depth=1
	v_bcnt_u32_b32 v0, v0, 0
	ds_store_b32 v28, v0
.LBB7_7:                                ;   in Loop: Header=BB7_5 Depth=1
	s_or_b32 exec_lo, exec_lo, s11
	; wave barrier
	s_waitcnt lgkmcnt(0)
	s_barrier
	buffer_gl0_inv
	ds_load_2addr_b64 v[4:7], v19 offset0:1 offset1:2
	ds_load_2addr_b64 v[0:3], v20 offset0:2 offset1:3
	s_waitcnt lgkmcnt(1)
	v_add_nc_u32_e32 v29, v5, v4
	s_delay_alu instid0(VALU_DEP_1) | instskip(SKIP_1) | instid1(VALU_DEP_1)
	v_add3_u32 v29, v29, v6, v7
	s_waitcnt lgkmcnt(0)
	v_add3_u32 v29, v29, v0, v1
	s_delay_alu instid0(VALU_DEP_1) | instskip(NEXT) | instid1(VALU_DEP_1)
	v_add3_u32 v3, v29, v2, v3
	v_mov_b32_dpp v29, v3 row_shr:1 row_mask:0xf bank_mask:0xf
	s_delay_alu instid0(VALU_DEP_1) | instskip(NEXT) | instid1(VALU_DEP_1)
	v_cndmask_b32_e64 v29, v29, 0, s0
	v_add_nc_u32_e32 v3, v29, v3
	s_delay_alu instid0(VALU_DEP_1) | instskip(NEXT) | instid1(VALU_DEP_1)
	v_mov_b32_dpp v29, v3 row_shr:2 row_mask:0xf bank_mask:0xf
	v_cndmask_b32_e64 v29, 0, v29, s1
	s_delay_alu instid0(VALU_DEP_1) | instskip(NEXT) | instid1(VALU_DEP_1)
	v_add_nc_u32_e32 v3, v3, v29
	v_mov_b32_dpp v29, v3 row_shr:4 row_mask:0xf bank_mask:0xf
	s_delay_alu instid0(VALU_DEP_1) | instskip(NEXT) | instid1(VALU_DEP_1)
	v_cndmask_b32_e64 v29, 0, v29, s2
	v_add_nc_u32_e32 v3, v3, v29
	s_delay_alu instid0(VALU_DEP_1) | instskip(NEXT) | instid1(VALU_DEP_1)
	v_mov_b32_dpp v29, v3 row_shr:8 row_mask:0xf bank_mask:0xf
	v_cndmask_b32_e64 v29, 0, v29, s3
	s_delay_alu instid0(VALU_DEP_1) | instskip(SKIP_3) | instid1(VALU_DEP_1)
	v_add_nc_u32_e32 v3, v3, v29
	ds_swizzle_b32 v29, v3 offset:swizzle(BROADCAST,32,15)
	s_waitcnt lgkmcnt(0)
	v_cndmask_b32_e64 v29, v29, 0, s4
	v_add_nc_u32_e32 v3, v3, v29
	s_and_saveexec_b32 s11, s5
	s_cbranch_execz .LBB7_9
; %bb.8:                                ;   in Loop: Header=BB7_5 Depth=1
	ds_store_b32 v23, v3
.LBB7_9:                                ;   in Loop: Header=BB7_5 Depth=1
	s_or_b32 exec_lo, exec_lo, s11
	s_waitcnt lgkmcnt(0)
	s_barrier
	buffer_gl0_inv
	s_and_saveexec_b32 s11, s6
	s_cbranch_execz .LBB7_11
; %bb.10:                               ;   in Loop: Header=BB7_5 Depth=1
	ds_load_b32 v29, v26
	s_waitcnt lgkmcnt(0)
	v_mov_b32_dpp v30, v29 row_shr:1 row_mask:0xf bank_mask:0xf
	s_delay_alu instid0(VALU_DEP_1) | instskip(NEXT) | instid1(VALU_DEP_1)
	v_cndmask_b32_e64 v30, v30, 0, s10
	v_add_nc_u32_e32 v29, v30, v29
	ds_store_b32 v26, v29
.LBB7_11:                               ;   in Loop: Header=BB7_5 Depth=1
	s_or_b32 exec_lo, exec_lo, s11
	v_mov_b32_e32 v29, 0
	s_waitcnt lgkmcnt(0)
	s_barrier
	buffer_gl0_inv
	s_and_saveexec_b32 s11, s7
	s_cbranch_execz .LBB7_13
; %bb.12:                               ;   in Loop: Header=BB7_5 Depth=1
	ds_load_b32 v29, v24
.LBB7_13:                               ;   in Loop: Header=BB7_5 Depth=1
	s_or_b32 exec_lo, exec_lo, s11
	s_waitcnt lgkmcnt(0)
	v_add_nc_u32_e32 v3, v29, v3
	s_add_i32 s18, s18, 8
	s_delay_alu instid0(SALU_CYCLE_1) | instskip(SKIP_3) | instid1(VALU_DEP_1)
	s_cmp_ge_u32 s18, s19
	ds_bpermute_b32 v3, v22, v3
	s_waitcnt lgkmcnt(0)
	v_cndmask_b32_e64 v3, v3, v29, s8
	v_cndmask_b32_e64 v3, v3, 0, s9
	s_delay_alu instid0(VALU_DEP_1) | instskip(NEXT) | instid1(VALU_DEP_1)
	v_add_nc_u32_e32 v4, v3, v4
	v_add_nc_u32_e32 v5, v4, v5
	s_delay_alu instid0(VALU_DEP_1) | instskip(NEXT) | instid1(VALU_DEP_1)
	v_add_nc_u32_e32 v6, v5, v6
	v_add_nc_u32_e32 v29, v6, v7
	;; [unrolled: 3-line block ×3, first 2 shown]
	s_delay_alu instid0(VALU_DEP_1)
	v_add_nc_u32_e32 v1, v0, v2
	ds_store_2addr_b64 v19, v[3:4], v[5:6] offset0:1 offset1:2
	ds_store_2addr_b64 v20, v[29:30], v[0:1] offset0:2 offset1:3
	s_waitcnt lgkmcnt(0)
	s_barrier
	buffer_gl0_inv
	ds_load_b32 v0, v28
	v_lshlrev_b32_e32 v1, 3, v27
	s_waitcnt lgkmcnt(0)
	s_delay_alu instid0(VALU_DEP_1)
	v_lshl_add_u32 v2, v0, 3, v1
	s_cbranch_scc0 .LBB7_4
; %bb.14:
                                        ; implicit-def: $vgpr0_vgpr1
                                        ; implicit-def: $sgpr12
.LBB7_15:
	s_barrier
	buffer_gl0_inv
	ds_store_b64 v2, v[16:17]
	s_waitcnt lgkmcnt(0)
	s_barrier
	s_branch .LBB7_2
.LBB7_16:
	s_mov_b32 s12, 0
	s_delay_alu instid0(SALU_CYCLE_1)
	s_mov_b32 s13, s12
	s_mov_b32 s14, s12
	;; [unrolled: 1-line block ×3, first 2 shown]
	v_dual_mov_b32 v12, s12 :: v_dual_mov_b32 v13, s13
	v_dual_mov_b32 v14, s14 :: v_dual_mov_b32 v15, s15
	s_mov_b64 s[12:13], 0
	s_branch .LBB7_18
.LBB7_17:                               ;   in Loop: Header=BB7_18 Depth=1
	s_delay_alu instid0(VALU_DEP_1)
	v_lshlrev_b32_e32 v1, 3, v0
	s_barrier
	buffer_gl0_inv
	s_add_u32 s12, s12, 8
	ds_store_b64 v1, v[16:17]
	s_waitcnt lgkmcnt(0)
	s_barrier
	buffer_gl0_inv
	ds_load_b64 v[10:11], v25
	s_addc_u32 s13, s13, 0
	s_waitcnt lgkmcnt(0)
	s_barrier
	buffer_gl0_inv
	s_cbranch_execz .LBB7_28
.LBB7_18:                               ; =>This Inner Loop Header: Depth=1
	s_waitcnt vmcnt(0)
	v_dual_mov_b32 v17, v11 :: v_dual_mov_b32 v16, v10
	ds_store_2addr_b64 v19, v[12:13], v[14:15] offset0:1 offset1:2
	ds_store_2addr_b64 v20, v[12:13], v[14:15] offset0:2 offset1:3
	s_waitcnt lgkmcnt(0)
	s_barrier
	buffer_gl0_inv
	v_lshrrev_b64 v[1:2], s12, v[16:17]
	; wave barrier
	s_delay_alu instid0(VALU_DEP_1)
	v_and_b32_e32 v0, 1, v1
	v_lshlrev_b32_e32 v2, 30, v1
	v_lshlrev_b32_e32 v3, 29, v1
	v_lshlrev_b32_e32 v4, 28, v1
	v_lshlrev_b32_e32 v6, 27, v1
	v_add_co_u32 v0, s11, v0, -1
	s_delay_alu instid0(VALU_DEP_1)
	v_cndmask_b32_e64 v5, 0, 1, s11
	v_not_b32_e32 v11, v2
	v_cmp_gt_i32_e64 s11, 0, v2
	v_not_b32_e32 v2, v3
	v_lshlrev_b32_e32 v7, 26, v1
	v_cmp_ne_u32_e32 vcc_lo, 0, v5
	v_ashrrev_i32_e32 v11, 31, v11
	v_lshlrev_b32_e32 v10, 25, v1
	v_ashrrev_i32_e32 v2, 31, v2
	v_lshlrev_b32_e32 v5, 24, v1
	v_xor_b32_e32 v0, vcc_lo, v0
	v_cmp_gt_i32_e32 vcc_lo, 0, v3
	v_not_b32_e32 v3, v4
	v_xor_b32_e32 v11, s11, v11
	v_cmp_gt_i32_e64 s11, 0, v4
	v_and_b32_e32 v0, exec_lo, v0
	v_not_b32_e32 v4, v6
	v_ashrrev_i32_e32 v3, 31, v3
	v_xor_b32_e32 v2, vcc_lo, v2
	v_cmp_gt_i32_e32 vcc_lo, 0, v6
	v_and_b32_e32 v0, v0, v11
	v_not_b32_e32 v6, v7
	v_ashrrev_i32_e32 v4, 31, v4
	v_xor_b32_e32 v3, s11, v3
	v_cmp_gt_i32_e64 s11, 0, v7
	v_and_b32_e32 v0, v0, v2
	v_not_b32_e32 v2, v10
	v_ashrrev_i32_e32 v6, 31, v6
	v_xor_b32_e32 v4, vcc_lo, v4
	v_cmp_gt_i32_e32 vcc_lo, 0, v10
	v_and_b32_e32 v0, v0, v3
	v_not_b32_e32 v3, v5
	v_ashrrev_i32_e32 v2, 31, v2
	v_xor_b32_e32 v6, s11, v6
	v_cmp_gt_i32_e64 s11, 0, v5
	v_and_b32_e32 v0, v0, v4
	v_ashrrev_i32_e32 v3, 31, v3
	v_xor_b32_e32 v2, vcc_lo, v2
	v_and_b32_e32 v1, 0xff, v1
	s_delay_alu instid0(VALU_DEP_4) | instskip(NEXT) | instid1(VALU_DEP_4)
	v_and_b32_e32 v0, v0, v6
	v_xor_b32_e32 v3, s11, v3
	s_delay_alu instid0(VALU_DEP_3) | instskip(NEXT) | instid1(VALU_DEP_3)
	v_lshl_add_u32 v1, v1, 1, v21
	v_and_b32_e32 v0, v0, v2
	s_delay_alu instid0(VALU_DEP_2) | instskip(NEXT) | instid1(VALU_DEP_2)
	v_lshl_add_u32 v11, v1, 2, 8
	v_and_b32_e32 v0, v0, v3
	s_delay_alu instid0(VALU_DEP_1) | instskip(SKIP_1) | instid1(VALU_DEP_2)
	v_mbcnt_lo_u32_b32 v10, v0, 0
	v_cmp_ne_u32_e64 s11, 0, v0
	v_cmp_eq_u32_e32 vcc_lo, 0, v10
	s_delay_alu instid0(VALU_DEP_2) | instskip(NEXT) | instid1(SALU_CYCLE_1)
	s_and_b32 s14, s11, vcc_lo
	s_and_saveexec_b32 s11, s14
	s_cbranch_execz .LBB7_20
; %bb.19:                               ;   in Loop: Header=BB7_18 Depth=1
	v_bcnt_u32_b32 v0, v0, 0
	ds_store_b32 v11, v0
.LBB7_20:                               ;   in Loop: Header=BB7_18 Depth=1
	s_or_b32 exec_lo, exec_lo, s11
	; wave barrier
	s_waitcnt lgkmcnt(0)
	s_barrier
	buffer_gl0_inv
	ds_load_2addr_b64 v[4:7], v19 offset0:1 offset1:2
	ds_load_2addr_b64 v[0:3], v20 offset0:2 offset1:3
	s_waitcnt lgkmcnt(1)
	v_add_nc_u32_e32 v27, v5, v4
	s_delay_alu instid0(VALU_DEP_1) | instskip(SKIP_1) | instid1(VALU_DEP_1)
	v_add3_u32 v27, v27, v6, v7
	s_waitcnt lgkmcnt(0)
	v_add3_u32 v27, v27, v0, v1
	s_delay_alu instid0(VALU_DEP_1) | instskip(NEXT) | instid1(VALU_DEP_1)
	v_add3_u32 v3, v27, v2, v3
	v_mov_b32_dpp v27, v3 row_shr:1 row_mask:0xf bank_mask:0xf
	s_delay_alu instid0(VALU_DEP_1) | instskip(NEXT) | instid1(VALU_DEP_1)
	v_cndmask_b32_e64 v27, v27, 0, s0
	v_add_nc_u32_e32 v3, v27, v3
	s_delay_alu instid0(VALU_DEP_1) | instskip(NEXT) | instid1(VALU_DEP_1)
	v_mov_b32_dpp v27, v3 row_shr:2 row_mask:0xf bank_mask:0xf
	v_cndmask_b32_e64 v27, 0, v27, s1
	s_delay_alu instid0(VALU_DEP_1) | instskip(NEXT) | instid1(VALU_DEP_1)
	v_add_nc_u32_e32 v3, v3, v27
	v_mov_b32_dpp v27, v3 row_shr:4 row_mask:0xf bank_mask:0xf
	s_delay_alu instid0(VALU_DEP_1) | instskip(NEXT) | instid1(VALU_DEP_1)
	v_cndmask_b32_e64 v27, 0, v27, s2
	v_add_nc_u32_e32 v3, v3, v27
	s_delay_alu instid0(VALU_DEP_1) | instskip(NEXT) | instid1(VALU_DEP_1)
	v_mov_b32_dpp v27, v3 row_shr:8 row_mask:0xf bank_mask:0xf
	v_cndmask_b32_e64 v27, 0, v27, s3
	s_delay_alu instid0(VALU_DEP_1) | instskip(SKIP_3) | instid1(VALU_DEP_1)
	v_add_nc_u32_e32 v3, v3, v27
	ds_swizzle_b32 v27, v3 offset:swizzle(BROADCAST,32,15)
	s_waitcnt lgkmcnt(0)
	v_cndmask_b32_e64 v27, v27, 0, s4
	v_add_nc_u32_e32 v3, v3, v27
	s_and_saveexec_b32 s11, s5
	s_cbranch_execz .LBB7_22
; %bb.21:                               ;   in Loop: Header=BB7_18 Depth=1
	ds_store_b32 v23, v3
.LBB7_22:                               ;   in Loop: Header=BB7_18 Depth=1
	s_or_b32 exec_lo, exec_lo, s11
	s_waitcnt lgkmcnt(0)
	s_barrier
	buffer_gl0_inv
	s_and_saveexec_b32 s11, s6
	s_cbranch_execz .LBB7_24
; %bb.23:                               ;   in Loop: Header=BB7_18 Depth=1
	ds_load_b32 v27, v26
	s_waitcnt lgkmcnt(0)
	v_mov_b32_dpp v28, v27 row_shr:1 row_mask:0xf bank_mask:0xf
	s_delay_alu instid0(VALU_DEP_1) | instskip(NEXT) | instid1(VALU_DEP_1)
	v_cndmask_b32_e64 v28, v28, 0, s10
	v_add_nc_u32_e32 v27, v28, v27
	ds_store_b32 v26, v27
.LBB7_24:                               ;   in Loop: Header=BB7_18 Depth=1
	s_or_b32 exec_lo, exec_lo, s11
	v_mov_b32_e32 v27, 0
	s_waitcnt lgkmcnt(0)
	s_barrier
	buffer_gl0_inv
	s_and_saveexec_b32 s11, s7
	s_cbranch_execz .LBB7_26
; %bb.25:                               ;   in Loop: Header=BB7_18 Depth=1
	ds_load_b32 v27, v24
.LBB7_26:                               ;   in Loop: Header=BB7_18 Depth=1
	s_or_b32 exec_lo, exec_lo, s11
	s_waitcnt lgkmcnt(0)
	v_add_nc_u32_e32 v3, v27, v3
	s_cmp_gt_u32 s12, 55
	ds_bpermute_b32 v3, v22, v3
	s_waitcnt lgkmcnt(0)
	v_cndmask_b32_e64 v3, v3, v27, s8
	s_delay_alu instid0(VALU_DEP_1) | instskip(NEXT) | instid1(VALU_DEP_1)
	v_cndmask_b32_e64 v3, v3, 0, s9
	v_add_nc_u32_e32 v4, v3, v4
	s_delay_alu instid0(VALU_DEP_1) | instskip(NEXT) | instid1(VALU_DEP_1)
	v_add_nc_u32_e32 v5, v4, v5
	v_add_nc_u32_e32 v6, v5, v6
	s_delay_alu instid0(VALU_DEP_1) | instskip(NEXT) | instid1(VALU_DEP_1)
	v_add_nc_u32_e32 v27, v6, v7
	;; [unrolled: 3-line block ×3, first 2 shown]
	v_add_nc_u32_e32 v1, v0, v2
	ds_store_2addr_b64 v19, v[3:4], v[5:6] offset0:1 offset1:2
	ds_store_2addr_b64 v20, v[27:28], v[0:1] offset0:2 offset1:3
	s_waitcnt lgkmcnt(0)
	s_barrier
	buffer_gl0_inv
	ds_load_b32 v0, v11
	s_waitcnt lgkmcnt(0)
	v_add_nc_u32_e32 v0, v0, v10
	s_cbranch_scc0 .LBB7_17
; %bb.27:
                                        ; implicit-def: $vgpr10_vgpr11
                                        ; implicit-def: $sgpr12_sgpr13
.LBB7_28:
	s_delay_alu instid0(VALU_DEP_1)
	v_lshlrev_b32_e32 v0, 3, v0
	s_barrier
	buffer_gl0_inv
	ds_store_b64 v0, v[16:17]
	s_waitcnt lgkmcnt(0)
	s_barrier
	buffer_gl0_inv
	ds_load_b64 v[0:1], v18
	s_waitcnt lgkmcnt(0)
	global_store_b64 v[8:9], v[0:1], off
	s_nop 0
	s_sendmsg sendmsg(MSG_DEALLOC_VGPRS)
	s_endpgm
	.section	.rodata,"a",@progbits
	.p2align	6, 0x0
	.amdhsa_kernel _Z15sort_key_kernelILj64ELj1ELb0ELb0EyEvPT3_jj
		.amdhsa_group_segment_fixed_size 2064
		.amdhsa_private_segment_fixed_size 0
		.amdhsa_kernarg_size 272
		.amdhsa_user_sgpr_count 15
		.amdhsa_user_sgpr_dispatch_ptr 0
		.amdhsa_user_sgpr_queue_ptr 0
		.amdhsa_user_sgpr_kernarg_segment_ptr 1
		.amdhsa_user_sgpr_dispatch_id 0
		.amdhsa_user_sgpr_private_segment_size 0
		.amdhsa_wavefront_size32 1
		.amdhsa_uses_dynamic_stack 0
		.amdhsa_enable_private_segment 0
		.amdhsa_system_sgpr_workgroup_id_x 1
		.amdhsa_system_sgpr_workgroup_id_y 0
		.amdhsa_system_sgpr_workgroup_id_z 0
		.amdhsa_system_sgpr_workgroup_info 0
		.amdhsa_system_vgpr_workitem_id 2
		.amdhsa_next_free_vgpr 31
		.amdhsa_next_free_sgpr 20
		.amdhsa_reserve_vcc 1
		.amdhsa_float_round_mode_32 0
		.amdhsa_float_round_mode_16_64 0
		.amdhsa_float_denorm_mode_32 3
		.amdhsa_float_denorm_mode_16_64 3
		.amdhsa_dx10_clamp 1
		.amdhsa_ieee_mode 1
		.amdhsa_fp16_overflow 0
		.amdhsa_workgroup_processor_mode 1
		.amdhsa_memory_ordered 1
		.amdhsa_forward_progress 0
		.amdhsa_shared_vgpr_count 0
		.amdhsa_exception_fp_ieee_invalid_op 0
		.amdhsa_exception_fp_denorm_src 0
		.amdhsa_exception_fp_ieee_div_zero 0
		.amdhsa_exception_fp_ieee_overflow 0
		.amdhsa_exception_fp_ieee_underflow 0
		.amdhsa_exception_fp_ieee_inexact 0
		.amdhsa_exception_int_div_zero 0
	.end_amdhsa_kernel
	.section	.text._Z15sort_key_kernelILj64ELj1ELb0ELb0EyEvPT3_jj,"axG",@progbits,_Z15sort_key_kernelILj64ELj1ELb0ELb0EyEvPT3_jj,comdat
.Lfunc_end7:
	.size	_Z15sort_key_kernelILj64ELj1ELb0ELb0EyEvPT3_jj, .Lfunc_end7-_Z15sort_key_kernelILj64ELj1ELb0ELb0EyEvPT3_jj
                                        ; -- End function
	.section	.AMDGPU.csdata,"",@progbits
; Kernel info:
; codeLenInByte = 2456
; NumSgprs: 22
; NumVgprs: 31
; ScratchSize: 0
; MemoryBound: 0
; FloatMode: 240
; IeeeMode: 1
; LDSByteSize: 2064 bytes/workgroup (compile time only)
; SGPRBlocks: 2
; VGPRBlocks: 3
; NumSGPRsForWavesPerEU: 22
; NumVGPRsForWavesPerEU: 31
; Occupancy: 16
; WaveLimiterHint : 0
; COMPUTE_PGM_RSRC2:SCRATCH_EN: 0
; COMPUTE_PGM_RSRC2:USER_SGPR: 15
; COMPUTE_PGM_RSRC2:TRAP_HANDLER: 0
; COMPUTE_PGM_RSRC2:TGID_X_EN: 1
; COMPUTE_PGM_RSRC2:TGID_Y_EN: 0
; COMPUTE_PGM_RSRC2:TGID_Z_EN: 0
; COMPUTE_PGM_RSRC2:TIDIG_COMP_CNT: 2
	.section	.text._Z15sort_key_kernelILj234ELj9ELb0ELb0EsEvPT3_jj,"axG",@progbits,_Z15sort_key_kernelILj234ELj9ELb0ELb0EsEvPT3_jj,comdat
	.protected	_Z15sort_key_kernelILj234ELj9ELb0ELb0EsEvPT3_jj ; -- Begin function _Z15sort_key_kernelILj234ELj9ELb0ELb0EsEvPT3_jj
	.globl	_Z15sort_key_kernelILj234ELj9ELb0ELb0EsEvPT3_jj
	.p2align	8
	.type	_Z15sort_key_kernelILj234ELj9ELb0ELb0EsEvPT3_jj,@function
_Z15sort_key_kernelILj234ELj9ELb0ELb0EsEvPT3_jj: ; @_Z15sort_key_kernelILj234ELj9ELb0ELb0EsEvPT3_jj
; %bb.0:
	s_load_b128 s[16:19], s[0:1], 0x0
	v_mul_u32_u24_e32 v1, 9, v0
	s_mov_b32 s1, 0
	s_mul_i32 s0, s15, 0x83a
	v_mbcnt_lo_u32_b32 v7, -1, 0
	s_lshl_b64 s[0:1], s[0:1], 1
	v_lshlrev_b32_e32 v5, 1, v1
	v_and_b32_e32 v10, 0xe0, v0
	v_lshrrev_b32_e32 v12, 3, v0
	v_and_b32_e32 v8, 15, v7
	v_add_nc_u32_e32 v11, -1, v7
	v_and_b32_e32 v13, 7, v7
	v_and_b32_e32 v9, 16, v7
	v_cmp_gt_u32_e64 s2, 8, v0
	v_cmp_eq_u32_e64 s10, 0, v8
	v_cmp_lt_u32_e64 s9, 1, v8
	v_cmp_lt_u32_e64 s8, 3, v8
	;; [unrolled: 1-line block ×3, first 2 shown]
	v_min_u32_e32 v8, 0xca, v10
	v_cmp_gt_i32_e32 vcc_lo, 0, v11
	s_waitcnt lgkmcnt(0)
	s_add_u32 s14, s16, s0
	s_addc_u32 s15, s17, s1
	v_lshlrev_b32_e32 v16, 5, v0
	s_clause 0x1
	global_load_b128 v[1:4], v5, s[14:15]
	global_load_u16 v6, v5, s[14:15] offset:16
	s_cmp_eq_u32 s18, 0
	v_cmp_eq_u32_e64 s0, 0, v7
	v_cndmask_b32_e32 v7, v11, v7, vcc_lo
	s_cselect_b32 s13, -1, 0
	s_cmp_eq_u32 s19, 16
	v_mad_i32_i24 v19, 0xffffffe4, v0, v16
	v_add_nc_u32_e32 v8, 31, v8
	s_cselect_b32 s16, -1, 0
	v_cmp_eq_u32_e64 s5, 0, v13
	v_cmp_lt_u32_e64 s4, 1, v13
	v_cmp_lt_u32_e64 s3, 3, v13
	s_and_b32 s13, s13, s16
	v_add_co_u32 v13, s14, s14, v5
	v_cmp_lt_u32_e64 s1, 31, v0
	v_lshlrev_b32_e32 v20, 2, v0
	v_cmp_gt_u32_e64 s12, 0x3a8, v0
	v_cmp_eq_u32_e64 s6, 0, v9
	v_and_b32_e32 v18, 28, v12
	v_lshlrev_b32_e32 v17, 2, v7
	v_mad_u32_u24 v15, v0, 14, v19
	v_cmp_eq_u32_e64 s11, v8, v0
	v_add_co_ci_u32_e64 v14, null, s15, 0, s14
	s_and_b32 vcc_lo, exec_lo, s13
	v_cmp_gt_u32_e64 s13, 0x2be, v0
	s_mov_b32 s14, -1
	s_waitcnt vmcnt(1)
	v_xor_b32_e32 v25, 0x80008000, v1
	v_xor_b32_e32 v24, 0x80008000, v2
	v_xor_b32_e32 v23, 0x80008000, v3
	v_xor_b32_e32 v22, 0x80008000, v4
	s_waitcnt vmcnt(0)
	v_xor_b32_e32 v21, 0xffff8000, v6
	s_cbranch_vccnz .LBB8_17
; %bb.1:
	v_cmp_gt_u32_e64 s14, 0x1d4, v0
	v_cmp_gt_u32_e64 s15, 0xea, v0
	v_dual_mov_b32 v26, 0 :: v_dual_mov_b32 v1, v25
	v_dual_mov_b32 v3, v23 :: v_dual_add_nc_u32 v28, 0x700, v20
	v_mov_b32_e32 v2, v24
	v_mov_b32_e32 v4, v22
	;; [unrolled: 1-line block ×3, first 2 shown]
	s_sub_i32 s16, s19, s18
	s_branch .LBB8_3
.LBB8_2:                                ;   in Loop: Header=BB8_3 Depth=1
	s_barrier
	buffer_gl0_inv
	ds_store_b16 v6, v1
	ds_store_b16 v7, v29
	;; [unrolled: 1-line block ×9, first 2 shown]
	s_waitcnt lgkmcnt(0)
	s_barrier
	buffer_gl0_inv
	ds_load_b128 v[1:4], v15
	ds_load_u16 v38, v15 offset:16
	s_add_i32 s16, s16, -4
	s_waitcnt lgkmcnt(0)
	s_barrier
	buffer_gl0_inv
	s_cbranch_execz .LBB8_16
.LBB8_3:                                ; =>This Inner Loop Header: Depth=1
	s_delay_alu instid0(VALU_DEP_1)
	v_mov_b32_e32 v27, v38
	ds_store_2addr_b32 v20, v26, v26 offset1:234
	ds_store_2addr_b32 v28, v26, v26 offset0:20 offset1:254
	s_and_saveexec_b32 s17, s12
	s_cbranch_execz .LBB8_8
; %bb.4:                                ;   in Loop: Header=BB8_3 Depth=1
	ds_store_b32 v20, v26 offset:3744
	s_and_b32 exec_lo, exec_lo, s13
	s_cbranch_execz .LBB8_8
; %bb.5:                                ;   in Loop: Header=BB8_3 Depth=1
	ds_store_b32 v20, v26 offset:4680
	s_and_b32 exec_lo, exec_lo, s14
	;; [unrolled: 4-line block ×3, first 2 shown]
	s_cbranch_execz .LBB8_8
; %bb.7:                                ;   in Loop: Header=BB8_3 Depth=1
	ds_store_b32 v20, v26 offset:6552
.LBB8_8:                                ;   in Loop: Header=BB8_3 Depth=1
	s_or_b32 exec_lo, exec_lo, s17
	v_and_b32_e32 v5, 0xffff, v1
	s_min_u32 s17, s16, 4
	v_lshrrev_b32_e32 v29, 16, v1
	s_lshl_b32 s17, -1, s17
	v_and_b32_e32 v7, 0xffff, v2
	v_lshrrev_b32_e32 v5, s18, v5
	s_not_b32 s17, s17
	v_lshrrev_b32_e32 v30, 16, v2
	v_lshrrev_b32_e32 v31, 16, v3
	;; [unrolled: 1-line block ×3, first 2 shown]
	v_and_b32_e32 v5, s17, v5
	s_delay_alu instid0(VALU_DEP_1) | instskip(SKIP_1) | instid1(VALU_DEP_2)
	v_and_b32_e32 v6, 7, v5
	v_lshrrev_b32_e32 v5, 3, v5
	v_mul_u32_u24_e32 v6, 0xea, v6
	s_delay_alu instid0(VALU_DEP_1) | instskip(NEXT) | instid1(VALU_DEP_1)
	v_add_lshl_u32 v6, v6, v0, 1
	v_add_lshl_u32 v33, v6, v5, 1
	v_lshrrev_b32_e32 v5, s18, v29
	ds_load_u16 v35, v33
	v_and_b32_e32 v5, s17, v5
	s_delay_alu instid0(VALU_DEP_1) | instskip(SKIP_1) | instid1(VALU_DEP_2)
	v_and_b32_e32 v6, 7, v5
	v_lshrrev_b32_e32 v5, 3, v5
	v_mul_u32_u24_e32 v6, 0xea, v6
	s_delay_alu instid0(VALU_DEP_1) | instskip(SKIP_2) | instid1(VALU_DEP_2)
	v_add_lshl_u32 v6, v6, v0, 1
	s_waitcnt lgkmcnt(0)
	v_add_nc_u16 v8, v35, 1
	v_add_lshl_u32 v34, v6, v5, 1
	v_lshrrev_b32_e32 v5, s18, v7
	ds_store_b16 v33, v8
	ds_load_u16 v37, v34
	v_and_b32_e32 v5, s17, v5
	s_delay_alu instid0(VALU_DEP_1) | instskip(SKIP_1) | instid1(VALU_DEP_2)
	v_and_b32_e32 v6, 7, v5
	v_lshrrev_b32_e32 v5, 3, v5
	v_mul_u32_u24_e32 v6, 0xea, v6
	s_delay_alu instid0(VALU_DEP_1) | instskip(SKIP_2) | instid1(VALU_DEP_2)
	v_add_lshl_u32 v6, v6, v0, 1
	s_waitcnt lgkmcnt(0)
	v_add_nc_u16 v7, v37, 1
	v_add_lshl_u32 v36, v6, v5, 1
	v_lshrrev_b32_e32 v5, s18, v30
	ds_store_b16 v34, v7
	ds_load_u16 v39, v36
	v_and_b32_e32 v5, s17, v5
	v_and_b32_e32 v7, 0xffff, v3
	s_delay_alu instid0(VALU_DEP_2) | instskip(SKIP_1) | instid1(VALU_DEP_2)
	v_and_b32_e32 v6, 7, v5
	v_lshrrev_b32_e32 v5, 3, v5
	v_mul_u32_u24_e32 v6, 0xea, v6
	s_delay_alu instid0(VALU_DEP_1) | instskip(SKIP_2) | instid1(VALU_DEP_2)
	v_add_lshl_u32 v6, v6, v0, 1
	s_waitcnt lgkmcnt(0)
	v_add_nc_u16 v8, v39, 1
	v_add_lshl_u32 v38, v6, v5, 1
	v_lshrrev_b32_e32 v5, s18, v7
	ds_store_b16 v36, v8
	ds_load_u16 v41, v38
	v_and_b32_e32 v5, s17, v5
	s_delay_alu instid0(VALU_DEP_1) | instskip(SKIP_1) | instid1(VALU_DEP_2)
	v_and_b32_e32 v6, 7, v5
	v_lshrrev_b32_e32 v5, 3, v5
	v_mul_u32_u24_e32 v6, 0xea, v6
	s_delay_alu instid0(VALU_DEP_1) | instskip(SKIP_2) | instid1(VALU_DEP_2)
	v_add_lshl_u32 v6, v6, v0, 1
	s_waitcnt lgkmcnt(0)
	v_add_nc_u16 v7, v41, 1
	v_add_lshl_u32 v40, v6, v5, 1
	v_lshrrev_b32_e32 v5, s18, v31
	ds_store_b16 v38, v7
	ds_load_u16 v43, v40
	v_and_b32_e32 v5, s17, v5
	v_and_b32_e32 v7, 0xffff, v4
	s_delay_alu instid0(VALU_DEP_2) | instskip(SKIP_1) | instid1(VALU_DEP_2)
	;; [unrolled: 27-line block ×3, first 2 shown]
	v_and_b32_e32 v6, 7, v5
	v_lshrrev_b32_e32 v5, 3, v5
	v_mul_u32_u24_e32 v6, 0xea, v6
	s_delay_alu instid0(VALU_DEP_1) | instskip(SKIP_2) | instid1(VALU_DEP_2)
	v_add_lshl_u32 v6, v6, v0, 1
	s_waitcnt lgkmcnt(0)
	v_add_nc_u16 v8, v47, 1
	v_add_lshl_u32 v46, v6, v5, 1
	v_lshrrev_b32_e32 v5, s18, v7
	ds_store_b16 v44, v8
	ds_load_u16 v50, v46
	v_and_b32_e32 v5, s17, v5
	s_delay_alu instid0(VALU_DEP_1) | instskip(SKIP_1) | instid1(VALU_DEP_2)
	v_and_b32_e32 v6, 7, v5
	v_lshrrev_b32_e32 v5, 3, v5
	v_mul_u32_u24_e32 v6, 0xea, v6
	s_delay_alu instid0(VALU_DEP_1) | instskip(SKIP_2) | instid1(VALU_DEP_2)
	v_add_lshl_u32 v6, v6, v0, 1
	s_waitcnt lgkmcnt(0)
	v_add_nc_u16 v7, v50, 1
	v_add_lshl_u32 v48, v6, v5, 1
	ds_store_b16 v46, v7
	ds_load_u16 v49, v48
	s_waitcnt lgkmcnt(0)
	v_add_nc_u16 v5, v49, 1
	ds_store_b16 v48, v5
	s_waitcnt lgkmcnt(0)
	s_barrier
	buffer_gl0_inv
	ds_load_2addr_b64 v[9:12], v16 offset1:1
	ds_load_2addr_b64 v[5:8], v16 offset0:2 offset1:3
	s_waitcnt lgkmcnt(1)
	v_add_nc_u32_e32 v51, v10, v9
	s_delay_alu instid0(VALU_DEP_1) | instskip(SKIP_1) | instid1(VALU_DEP_1)
	v_add3_u32 v51, v51, v11, v12
	s_waitcnt lgkmcnt(0)
	v_add3_u32 v51, v51, v5, v6
	s_delay_alu instid0(VALU_DEP_1) | instskip(NEXT) | instid1(VALU_DEP_1)
	v_add3_u32 v8, v51, v7, v8
	v_mov_b32_dpp v51, v8 row_shr:1 row_mask:0xf bank_mask:0xf
	s_delay_alu instid0(VALU_DEP_1) | instskip(NEXT) | instid1(VALU_DEP_1)
	v_cndmask_b32_e64 v51, v51, 0, s10
	v_add_nc_u32_e32 v8, v51, v8
	s_delay_alu instid0(VALU_DEP_1) | instskip(NEXT) | instid1(VALU_DEP_1)
	v_mov_b32_dpp v51, v8 row_shr:2 row_mask:0xf bank_mask:0xf
	v_cndmask_b32_e64 v51, 0, v51, s9
	s_delay_alu instid0(VALU_DEP_1) | instskip(NEXT) | instid1(VALU_DEP_1)
	v_add_nc_u32_e32 v8, v8, v51
	v_mov_b32_dpp v51, v8 row_shr:4 row_mask:0xf bank_mask:0xf
	s_delay_alu instid0(VALU_DEP_1) | instskip(NEXT) | instid1(VALU_DEP_1)
	v_cndmask_b32_e64 v51, 0, v51, s8
	v_add_nc_u32_e32 v8, v8, v51
	s_delay_alu instid0(VALU_DEP_1) | instskip(NEXT) | instid1(VALU_DEP_1)
	v_mov_b32_dpp v51, v8 row_shr:8 row_mask:0xf bank_mask:0xf
	v_cndmask_b32_e64 v51, 0, v51, s7
	s_delay_alu instid0(VALU_DEP_1) | instskip(SKIP_3) | instid1(VALU_DEP_1)
	v_add_nc_u32_e32 v8, v8, v51
	ds_swizzle_b32 v51, v8 offset:swizzle(BROADCAST,32,15)
	s_waitcnt lgkmcnt(0)
	v_cndmask_b32_e64 v51, v51, 0, s6
	v_add_nc_u32_e32 v8, v8, v51
	s_and_saveexec_b32 s17, s11
	s_cbranch_execz .LBB8_10
; %bb.9:                                ;   in Loop: Header=BB8_3 Depth=1
	ds_store_b32 v18, v8 offset:7488
.LBB8_10:                               ;   in Loop: Header=BB8_3 Depth=1
	s_or_b32 exec_lo, exec_lo, s17
	s_waitcnt lgkmcnt(0)
	s_barrier
	buffer_gl0_inv
	s_and_saveexec_b32 s17, s2
	s_cbranch_execz .LBB8_12
; %bb.11:                               ;   in Loop: Header=BB8_3 Depth=1
	ds_load_b32 v51, v19 offset:7488
	s_waitcnt lgkmcnt(0)
	v_mov_b32_dpp v52, v51 row_shr:1 row_mask:0xf bank_mask:0xf
	s_delay_alu instid0(VALU_DEP_1) | instskip(NEXT) | instid1(VALU_DEP_1)
	v_cndmask_b32_e64 v52, v52, 0, s5
	v_add_nc_u32_e32 v51, v52, v51
	s_delay_alu instid0(VALU_DEP_1) | instskip(NEXT) | instid1(VALU_DEP_1)
	v_mov_b32_dpp v52, v51 row_shr:2 row_mask:0xf bank_mask:0xf
	v_cndmask_b32_e64 v52, 0, v52, s4
	s_delay_alu instid0(VALU_DEP_1) | instskip(NEXT) | instid1(VALU_DEP_1)
	v_add_nc_u32_e32 v51, v51, v52
	v_mov_b32_dpp v52, v51 row_shr:4 row_mask:0xf bank_mask:0xf
	s_delay_alu instid0(VALU_DEP_1) | instskip(NEXT) | instid1(VALU_DEP_1)
	v_cndmask_b32_e64 v52, 0, v52, s3
	v_add_nc_u32_e32 v51, v51, v52
	ds_store_b32 v19, v51 offset:7488
.LBB8_12:                               ;   in Loop: Header=BB8_3 Depth=1
	s_or_b32 exec_lo, exec_lo, s17
	v_mov_b32_e32 v51, 0
	s_waitcnt lgkmcnt(0)
	s_barrier
	buffer_gl0_inv
	s_and_saveexec_b32 s17, s1
	s_cbranch_execz .LBB8_14
; %bb.13:                               ;   in Loop: Header=BB8_3 Depth=1
	ds_load_b32 v51, v18 offset:7484
.LBB8_14:                               ;   in Loop: Header=BB8_3 Depth=1
	s_or_b32 exec_lo, exec_lo, s17
	s_waitcnt lgkmcnt(0)
	v_add_nc_u32_e32 v8, v51, v8
	ds_load_b32 v52, v26 offset:7516
	v_and_b32_e32 v35, 0xffff, v35
	v_and_b32_e32 v37, 0xffff, v37
	;; [unrolled: 1-line block ×3, first 2 shown]
	ds_bpermute_b32 v8, v17, v8
	v_and_b32_e32 v41, 0xffff, v41
	v_and_b32_e32 v43, 0xffff, v43
	;; [unrolled: 1-line block ×5, first 2 shown]
	v_lshlrev_b32_e32 v35, 1, v35
	v_lshlrev_b32_e32 v37, 1, v37
	;; [unrolled: 1-line block ×5, first 2 shown]
	s_add_i32 s18, s18, 4
	s_delay_alu instid0(SALU_CYCLE_1) | instskip(SKIP_2) | instid1(VALU_DEP_1)
	s_cmp_ge_u32 s18, s19
	s_waitcnt lgkmcnt(0)
	v_cndmask_b32_e64 v8, v8, v51, s0
	v_lshl_add_u32 v51, v52, 16, v8
	v_mov_b32_e32 v8, v3
	s_delay_alu instid0(VALU_DEP_2) | instskip(NEXT) | instid1(VALU_DEP_1)
	v_dual_mov_b32 v9, v1 :: v_dual_add_nc_u32 v52, v51, v9
	v_dual_mov_b32 v10, v2 :: v_dual_add_nc_u32 v53, v52, v10
	s_delay_alu instid0(VALU_DEP_1) | instskip(NEXT) | instid1(VALU_DEP_1)
	v_add_nc_u32_e32 v54, v53, v11
	v_add_nc_u32_e32 v11, v54, v12
	s_delay_alu instid0(VALU_DEP_1) | instskip(NEXT) | instid1(VALU_DEP_1)
	v_dual_mov_b32 v5, v4 :: v_dual_add_nc_u32 v12, v11, v5
	v_add_nc_u32_e32 v6, v12, v6
	s_delay_alu instid0(VALU_DEP_1)
	v_add_nc_u32_e32 v7, v6, v7
	ds_store_2addr_b64 v16, v[51:52], v[53:54] offset1:1
	ds_store_2addr_b64 v16, v[11:12], v[6:7] offset0:2 offset1:3
	s_waitcnt lgkmcnt(0)
	s_barrier
	buffer_gl0_inv
	ds_load_u16 v6, v33
	ds_load_u16 v7, v34
	;; [unrolled: 1-line block ×9, first 2 shown]
	v_and_b32_e32 v42, 0xffff, v49
	v_lshlrev_b32_e32 v44, 1, v45
	v_lshlrev_b32_e32 v45, 1, v47
	v_lshlrev_b32_e32 v46, 1, v50
	s_waitcnt lgkmcnt(0)
	v_lshlrev_b32_e32 v42, 1, v42
	v_lshl_add_u32 v6, v6, 1, v35
	v_lshl_add_u32 v7, v7, 1, v37
	;; [unrolled: 1-line block ×9, first 2 shown]
	s_cbranch_scc0 .LBB8_2
; %bb.15:
                                        ; implicit-def: $vgpr38
                                        ; implicit-def: $vgpr4
                                        ; implicit-def: $sgpr16
.LBB8_16:
	s_mov_b32 s14, 0
	s_barrier
	buffer_gl0_inv
	ds_store_b16 v6, v9
	ds_store_b16 v7, v29
	;; [unrolled: 1-line block ×9, first 2 shown]
	s_waitcnt lgkmcnt(0)
	s_barrier
.LBB8_17:
	s_and_b32 vcc_lo, exec_lo, s14
	s_cbranch_vccz .LBB8_63
; %bb.18:
	v_mad_i32_i24 v1, v0, -14, v15
	v_mov_b32_e32 v2, 0
	v_cmp_gt_u32_e32 vcc_lo, 0x3a8, v0
	s_delay_alu instid0(VALU_DEP_3)
	v_add_nc_u32_e32 v3, 0x700, v1
	ds_store_2addr_b32 v1, v2, v2 offset1:234
	ds_store_2addr_b32 v3, v2, v2 offset0:20 offset1:254
	s_and_saveexec_b32 s13, vcc_lo
	s_cbranch_execz .LBB8_23
; %bb.19:
	v_mul_i32_i24_e32 v1, -14, v0
	v_cmp_gt_u32_e64 s12, 0x2be, v0
	s_delay_alu instid0(VALU_DEP_2)
	v_add_nc_u32_e32 v1, v15, v1
	ds_store_b32 v1, v2 offset:3744
	s_and_b32 exec_lo, exec_lo, s12
	s_cbranch_execz .LBB8_23
; %bb.20:
	v_mov_b32_e32 v2, 0
	v_cmp_gt_u32_e64 s12, 0x1d4, v0
	ds_store_b32 v1, v2 offset:4680
	s_and_b32 exec_lo, exec_lo, s12
	s_cbranch_execz .LBB8_23
; %bb.21:
	v_cmp_gt_u32_e64 s12, 0xea, v0
	ds_store_b32 v1, v2 offset:5616
	s_and_b32 exec_lo, exec_lo, s12
	s_cbranch_execz .LBB8_23
; %bb.22:
	v_mov_b32_e32 v2, 0
	ds_store_b32 v1, v2 offset:6552
.LBB8_23:
	s_or_b32 exec_lo, exec_lo, s13
	v_and_b32_e32 v1, 7, v25
	v_lshrrev_b32_e32 v2, 2, v25
	s_delay_alu instid0(VALU_DEP_2) | instskip(NEXT) | instid1(VALU_DEP_2)
	v_mad_u32_u24 v1, 0xea, v1, v0
	v_and_b32_e32 v2, 2, v2
	s_delay_alu instid0(VALU_DEP_1)
	v_lshl_or_b32 v9, v1, 2, v2
	v_bfe_u32 v1, v25, 16, 3
	v_lshrrev_b32_e32 v2, 18, v25
	ds_load_u16 v27, v9
	v_mad_u32_u24 v1, 0xea, v1, v0
	v_and_b32_e32 v2, 2, v2
	s_delay_alu instid0(VALU_DEP_1) | instskip(SKIP_2) | instid1(VALU_DEP_2)
	v_lshl_or_b32 v10, v1, 2, v2
	v_and_b32_e32 v1, 7, v24
	v_lshrrev_b32_e32 v2, 2, v24
	v_mad_u32_u24 v1, 0xea, v1, v0
	s_delay_alu instid0(VALU_DEP_2) | instskip(NEXT) | instid1(VALU_DEP_1)
	v_and_b32_e32 v2, 2, v2
	v_lshl_or_b32 v11, v1, 2, v2
	s_waitcnt lgkmcnt(0)
	v_add_nc_u16 v3, v27, 1
	v_bfe_u32 v1, v24, 16, 3
	v_lshrrev_b32_e32 v2, 18, v24
	ds_store_b16 v9, v3
	ds_load_u16 v29, v10
	v_mad_u32_u24 v1, 0xea, v1, v0
	v_and_b32_e32 v2, 2, v2
	s_delay_alu instid0(VALU_DEP_1) | instskip(SKIP_2) | instid1(VALU_DEP_2)
	v_lshl_or_b32 v12, v1, 2, v2
	v_and_b32_e32 v1, 7, v23
	v_lshrrev_b32_e32 v2, 2, v23
	v_mad_u32_u24 v1, 0xea, v1, v0
	s_delay_alu instid0(VALU_DEP_2) | instskip(NEXT) | instid1(VALU_DEP_1)
	v_and_b32_e32 v2, 2, v2
	v_lshl_or_b32 v26, v1, 2, v2
	s_waitcnt lgkmcnt(0)
	v_add_nc_u16 v3, v29, 1
	v_bfe_u32 v1, v23, 16, 3
	v_lshrrev_b32_e32 v2, 18, v23
	ds_store_b16 v10, v3
	;; [unrolled: 16-line block ×3, first 2 shown]
	ds_load_u16 v33, v12
	v_mad_u32_u24 v1, 0xea, v1, v0
	v_and_b32_e32 v2, 2, v2
	s_delay_alu instid0(VALU_DEP_1) | instskip(SKIP_1) | instid1(VALU_DEP_1)
	v_lshl_or_b32 v32, v1, 2, v2
	v_and_b32_e32 v1, 0xffff, v21
	v_and_b32_e32 v2, 7, v1
	v_lshrrev_b32_e32 v1, 2, v1
	s_delay_alu instid0(VALU_DEP_2) | instskip(NEXT) | instid1(VALU_DEP_2)
	v_mad_u32_u24 v2, 0xea, v2, v0
	v_and_b32_e32 v1, 2, v1
	s_waitcnt lgkmcnt(0)
	v_add_nc_u16 v3, v33, 1
	s_delay_alu instid0(VALU_DEP_2)
	v_lshl_or_b32 v34, v2, 2, v1
	ds_store_b16 v12, v3
	ds_load_u16 v35, v26
	s_waitcnt lgkmcnt(0)
	v_add_nc_u16 v3, v35, 1
	ds_store_b16 v26, v3
	ds_load_u16 v37, v28
	s_waitcnt lgkmcnt(0)
	v_add_nc_u16 v3, v37, 1
	;; [unrolled: 4-line block ×5, first 2 shown]
	ds_store_b16 v34, v1
	s_waitcnt lgkmcnt(0)
	s_barrier
	buffer_gl0_inv
	ds_load_2addr_b64 v[5:8], v16 offset1:1
	ds_load_2addr_b64 v[1:4], v16 offset0:2 offset1:3
	s_waitcnt lgkmcnt(1)
	v_add_nc_u32_e32 v36, v6, v5
	s_delay_alu instid0(VALU_DEP_1) | instskip(SKIP_1) | instid1(VALU_DEP_1)
	v_add3_u32 v36, v36, v7, v8
	s_waitcnt lgkmcnt(0)
	v_add3_u32 v36, v36, v1, v2
	s_delay_alu instid0(VALU_DEP_1) | instskip(NEXT) | instid1(VALU_DEP_1)
	v_add3_u32 v4, v36, v3, v4
	v_mov_b32_dpp v36, v4 row_shr:1 row_mask:0xf bank_mask:0xf
	s_delay_alu instid0(VALU_DEP_1) | instskip(NEXT) | instid1(VALU_DEP_1)
	v_cndmask_b32_e64 v36, v36, 0, s10
	v_add_nc_u32_e32 v4, v36, v4
	s_delay_alu instid0(VALU_DEP_1) | instskip(NEXT) | instid1(VALU_DEP_1)
	v_mov_b32_dpp v36, v4 row_shr:2 row_mask:0xf bank_mask:0xf
	v_cndmask_b32_e64 v36, 0, v36, s9
	s_delay_alu instid0(VALU_DEP_1) | instskip(NEXT) | instid1(VALU_DEP_1)
	v_add_nc_u32_e32 v4, v4, v36
	v_mov_b32_dpp v36, v4 row_shr:4 row_mask:0xf bank_mask:0xf
	s_delay_alu instid0(VALU_DEP_1) | instskip(NEXT) | instid1(VALU_DEP_1)
	v_cndmask_b32_e64 v36, 0, v36, s8
	v_add_nc_u32_e32 v4, v4, v36
	s_delay_alu instid0(VALU_DEP_1) | instskip(NEXT) | instid1(VALU_DEP_1)
	v_mov_b32_dpp v36, v4 row_shr:8 row_mask:0xf bank_mask:0xf
	v_cndmask_b32_e64 v36, 0, v36, s7
	s_delay_alu instid0(VALU_DEP_1) | instskip(SKIP_3) | instid1(VALU_DEP_1)
	v_add_nc_u32_e32 v4, v4, v36
	ds_swizzle_b32 v36, v4 offset:swizzle(BROADCAST,32,15)
	s_waitcnt lgkmcnt(0)
	v_cndmask_b32_e64 v36, v36, 0, s6
	v_add_nc_u32_e32 v44, v4, v36
	s_and_saveexec_b32 s12, s11
	s_cbranch_execz .LBB8_25
; %bb.24:
	ds_store_b32 v18, v44 offset:7488
.LBB8_25:
	s_or_b32 exec_lo, exec_lo, s12
	s_waitcnt lgkmcnt(0)
	s_barrier
	buffer_gl0_inv
	s_and_saveexec_b32 s12, s2
	s_cbranch_execz .LBB8_27
; %bb.26:
	ds_load_b32 v4, v19 offset:7488
	s_waitcnt lgkmcnt(0)
	v_mov_b32_dpp v36, v4 row_shr:1 row_mask:0xf bank_mask:0xf
	s_delay_alu instid0(VALU_DEP_1) | instskip(NEXT) | instid1(VALU_DEP_1)
	v_cndmask_b32_e64 v36, v36, 0, s5
	v_add_nc_u32_e32 v4, v36, v4
	s_delay_alu instid0(VALU_DEP_1) | instskip(NEXT) | instid1(VALU_DEP_1)
	v_mov_b32_dpp v36, v4 row_shr:2 row_mask:0xf bank_mask:0xf
	v_cndmask_b32_e64 v36, 0, v36, s4
	s_delay_alu instid0(VALU_DEP_1) | instskip(NEXT) | instid1(VALU_DEP_1)
	v_add_nc_u32_e32 v4, v4, v36
	v_mov_b32_dpp v36, v4 row_shr:4 row_mask:0xf bank_mask:0xf
	s_delay_alu instid0(VALU_DEP_1) | instskip(NEXT) | instid1(VALU_DEP_1)
	v_cndmask_b32_e64 v36, 0, v36, s3
	v_add_nc_u32_e32 v4, v4, v36
	ds_store_b32 v19, v4 offset:7488
.LBB8_27:
	s_or_b32 exec_lo, exec_lo, s12
	v_lshrrev_b32_e32 v41, 16, v25
	v_lshrrev_b32_e32 v39, 16, v24
	v_lshrrev_b32_e32 v38, 16, v23
	v_lshrrev_b32_e32 v4, 16, v22
	v_dual_mov_b32 v36, 0 :: v_dual_mov_b32 v45, 0
	s_waitcnt lgkmcnt(0)
	s_barrier
	buffer_gl0_inv
	s_and_saveexec_b32 s12, s1
	s_cbranch_execz .LBB8_29
; %bb.28:
	ds_load_b32 v45, v18 offset:7484
.LBB8_29:
	s_or_b32 exec_lo, exec_lo, s12
	s_waitcnt lgkmcnt(0)
	v_add_nc_u32_e32 v44, v45, v44
	ds_load_b32 v46, v36 offset:7516
	v_and_b32_e32 v27, 0xffff, v27
	v_and_b32_e32 v29, 0xffff, v29
	;; [unrolled: 1-line block ×3, first 2 shown]
	ds_bpermute_b32 v44, v17, v44
	v_and_b32_e32 v33, 0xffff, v33
	v_and_b32_e32 v35, 0xffff, v35
	;; [unrolled: 1-line block ×4, first 2 shown]
	v_lshlrev_b32_e32 v27, 1, v27
	s_waitcnt lgkmcnt(0)
	v_cndmask_b32_e64 v44, v44, v45, s0
	s_delay_alu instid0(VALU_DEP_1) | instskip(NEXT) | instid1(VALU_DEP_1)
	v_lshl_add_u32 v44, v46, 16, v44
	v_add_nc_u32_e32 v45, v44, v5
	s_delay_alu instid0(VALU_DEP_1) | instskip(NEXT) | instid1(VALU_DEP_1)
	v_add_nc_u32_e32 v5, v45, v6
	v_add_nc_u32_e32 v6, v5, v7
	s_delay_alu instid0(VALU_DEP_1) | instskip(NEXT) | instid1(VALU_DEP_1)
	v_add_nc_u32_e32 v7, v6, v8
	;; [unrolled: 3-line block ×3, first 2 shown]
	v_add_nc_u32_e32 v2, v1, v3
	v_and_b32_e32 v3, 0xffff, v42
	v_and_b32_e32 v42, 0xffff, v43
	ds_store_2addr_b64 v16, v[44:45], v[5:6] offset1:1
	ds_store_2addr_b64 v16, v[7:8], v[1:2] offset0:2 offset1:3
	s_waitcnt lgkmcnt(0)
	s_barrier
	buffer_gl0_inv
	ds_load_u16 v1, v9
	ds_load_u16 v2, v10
	;; [unrolled: 1-line block ×9, first 2 shown]
	v_lshlrev_b32_e32 v12, 1, v29
	v_lshlrev_b32_e32 v26, 1, v31
	;; [unrolled: 1-line block ×8, first 2 shown]
	s_waitcnt lgkmcnt(0)
	s_barrier
	buffer_gl0_inv
	v_lshl_add_u32 v1, v1, 1, v27
	v_lshl_add_u32 v2, v2, 1, v12
	;; [unrolled: 1-line block ×9, first 2 shown]
	ds_store_b16 v1, v25
	ds_store_b16 v2, v41
	;; [unrolled: 1-line block ×9, first 2 shown]
	s_waitcnt lgkmcnt(0)
	s_barrier
	buffer_gl0_inv
	ds_load_b128 v[1:4], v15
	ds_load_u16 v21, v15 offset:16
	v_add_nc_u32_e32 v5, 0x700, v20
	s_waitcnt lgkmcnt(0)
	s_barrier
	buffer_gl0_inv
	ds_store_2addr_b32 v20, v36, v36 offset1:234
	ds_store_2addr_b32 v5, v36, v36 offset0:20 offset1:254
	s_and_saveexec_b32 s13, vcc_lo
	s_cbranch_execz .LBB8_34
; %bb.30:
	v_mov_b32_e32 v5, 0
	v_cmp_gt_u32_e64 s12, 0x2be, v0
	ds_store_b32 v20, v5 offset:3744
	s_and_b32 exec_lo, exec_lo, s12
	s_cbranch_execz .LBB8_34
; %bb.31:
	v_cmp_gt_u32_e64 s12, 0x1d4, v0
	ds_store_b32 v20, v5 offset:4680
	s_and_b32 exec_lo, exec_lo, s12
	s_cbranch_execz .LBB8_34
; %bb.32:
	v_mov_b32_e32 v5, 0
	v_cmp_gt_u32_e64 s12, 0xea, v0
	ds_store_b32 v20, v5 offset:5616
	s_and_b32 exec_lo, exec_lo, s12
	s_cbranch_execz .LBB8_34
; %bb.33:
	ds_store_b32 v20, v5 offset:6552
.LBB8_34:
	s_or_b32 exec_lo, exec_lo, s13
	v_lshrrev_b16 v5, 4, v1
	s_delay_alu instid0(VALU_DEP_1) | instskip(NEXT) | instid1(VALU_DEP_1)
	v_and_b32_e32 v5, 0xffff, v5
	v_and_b32_e32 v6, 7, v5
	v_lshrrev_b32_e32 v5, 2, v5
	s_delay_alu instid0(VALU_DEP_2) | instskip(NEXT) | instid1(VALU_DEP_2)
	v_mad_u32_u24 v6, 0xea, v6, v0
	v_and_b32_e32 v5, 2, v5
	s_delay_alu instid0(VALU_DEP_1)
	v_lshl_or_b32 v22, v6, 2, v5
	v_bfe_u32 v5, v1, 20, 3
	v_lshrrev_b32_e32 v6, 22, v1
	ds_load_u16 v26, v22
	v_mad_u32_u24 v5, 0xea, v5, v0
	v_and_b32_e32 v6, 2, v6
	s_delay_alu instid0(VALU_DEP_1) | instskip(SKIP_1) | instid1(VALU_DEP_1)
	v_lshl_or_b32 v23, v5, 2, v6
	v_lshrrev_b16 v5, 4, v2
	v_and_b32_e32 v5, 0xffff, v5
	s_delay_alu instid0(VALU_DEP_1) | instskip(SKIP_3) | instid1(VALU_DEP_3)
	v_and_b32_e32 v6, 7, v5
	v_lshrrev_b32_e32 v5, 2, v5
	s_waitcnt lgkmcnt(0)
	v_add_nc_u16 v7, v26, 1
	v_mad_u32_u24 v6, 0xea, v6, v0
	s_delay_alu instid0(VALU_DEP_3)
	v_and_b32_e32 v5, 2, v5
	ds_store_b16 v22, v7
	ds_load_u16 v29, v23
	v_lshl_or_b32 v24, v6, 2, v5
	v_bfe_u32 v5, v2, 20, 3
	v_lshrrev_b32_e32 v6, 22, v2
	s_delay_alu instid0(VALU_DEP_2) | instskip(NEXT) | instid1(VALU_DEP_2)
	v_mad_u32_u24 v5, 0xea, v5, v0
	v_and_b32_e32 v6, 2, v6
	s_delay_alu instid0(VALU_DEP_1) | instskip(SKIP_3) | instid1(VALU_DEP_2)
	v_lshl_or_b32 v25, v5, 2, v6
	v_lshrrev_b16 v5, 4, v3
	s_waitcnt lgkmcnt(0)
	v_add_nc_u16 v7, v29, 1
	v_and_b32_e32 v5, 0xffff, v5
	ds_store_b16 v23, v7
	ds_load_u16 v30, v24
	v_and_b32_e32 v6, 7, v5
	v_lshrrev_b32_e32 v5, 2, v5
	s_delay_alu instid0(VALU_DEP_2) | instskip(NEXT) | instid1(VALU_DEP_2)
	v_mad_u32_u24 v6, 0xea, v6, v0
	v_and_b32_e32 v5, 2, v5
	s_delay_alu instid0(VALU_DEP_1) | instskip(SKIP_2) | instid1(VALU_DEP_2)
	v_lshl_or_b32 v27, v6, 2, v5
	v_bfe_u32 v5, v3, 20, 3
	v_lshrrev_b32_e32 v6, 22, v3
	v_mad_u32_u24 v5, 0xea, v5, v0
	s_delay_alu instid0(VALU_DEP_2) | instskip(SKIP_2) | instid1(VALU_DEP_2)
	v_and_b32_e32 v6, 2, v6
	s_waitcnt lgkmcnt(0)
	v_add_nc_u16 v7, v30, 1
	v_lshl_or_b32 v28, v5, 2, v6
	ds_store_b16 v24, v7
	ds_load_u16 v33, v25
	v_lshrrev_b16 v5, 4, v4
	s_delay_alu instid0(VALU_DEP_1) | instskip(NEXT) | instid1(VALU_DEP_1)
	v_and_b32_e32 v5, 0xffff, v5
	v_and_b32_e32 v6, 7, v5
	v_lshrrev_b32_e32 v5, 2, v5
	s_delay_alu instid0(VALU_DEP_2) | instskip(NEXT) | instid1(VALU_DEP_2)
	v_mad_u32_u24 v6, 0xea, v6, v0
	v_and_b32_e32 v5, 2, v5
	s_waitcnt lgkmcnt(0)
	v_add_nc_u16 v7, v33, 1
	s_delay_alu instid0(VALU_DEP_2)
	v_lshl_or_b32 v31, v6, 2, v5
	v_bfe_u32 v5, v4, 20, 3
	v_lshrrev_b32_e32 v6, 22, v4
	ds_store_b16 v25, v7
	ds_load_u16 v34, v27
	v_mad_u32_u24 v5, 0xea, v5, v0
	v_and_b32_e32 v6, 2, v6
	s_delay_alu instid0(VALU_DEP_1) | instskip(SKIP_1) | instid1(VALU_DEP_1)
	v_lshl_or_b32 v32, v5, 2, v6
	v_lshrrev_b16 v5, 4, v21
	v_and_b32_e32 v5, 0xffff, v5
	s_delay_alu instid0(VALU_DEP_1) | instskip(SKIP_3) | instid1(VALU_DEP_3)
	v_and_b32_e32 v6, 7, v5
	s_waitcnt lgkmcnt(0)
	v_add_nc_u16 v7, v34, 1
	v_lshrrev_b32_e32 v5, 2, v5
	v_mad_u32_u24 v6, 0xea, v6, v0
	ds_store_b16 v27, v7
	ds_load_u16 v36, v28
	v_and_b32_e32 v5, 2, v5
	s_delay_alu instid0(VALU_DEP_1)
	v_lshl_or_b32 v35, v6, 2, v5
	s_waitcnt lgkmcnt(0)
	v_add_nc_u16 v7, v36, 1
	ds_store_b16 v28, v7
	ds_load_u16 v38, v31
	s_waitcnt lgkmcnt(0)
	v_add_nc_u16 v7, v38, 1
	ds_store_b16 v31, v7
	ds_load_u16 v42, v32
	;; [unrolled: 4-line block ×3, first 2 shown]
	s_waitcnt lgkmcnt(0)
	v_add_nc_u16 v5, v43, 1
	ds_store_b16 v35, v5
	s_waitcnt lgkmcnt(0)
	s_barrier
	buffer_gl0_inv
	ds_load_2addr_b64 v[9:12], v16 offset1:1
	ds_load_2addr_b64 v[5:8], v16 offset0:2 offset1:3
	s_waitcnt lgkmcnt(1)
	v_add_nc_u32_e32 v37, v10, v9
	s_delay_alu instid0(VALU_DEP_1) | instskip(SKIP_1) | instid1(VALU_DEP_1)
	v_add3_u32 v37, v37, v11, v12
	s_waitcnt lgkmcnt(0)
	v_add3_u32 v37, v37, v5, v6
	s_delay_alu instid0(VALU_DEP_1) | instskip(NEXT) | instid1(VALU_DEP_1)
	v_add3_u32 v8, v37, v7, v8
	v_mov_b32_dpp v37, v8 row_shr:1 row_mask:0xf bank_mask:0xf
	s_delay_alu instid0(VALU_DEP_1) | instskip(NEXT) | instid1(VALU_DEP_1)
	v_cndmask_b32_e64 v37, v37, 0, s10
	v_add_nc_u32_e32 v8, v37, v8
	s_delay_alu instid0(VALU_DEP_1) | instskip(NEXT) | instid1(VALU_DEP_1)
	v_mov_b32_dpp v37, v8 row_shr:2 row_mask:0xf bank_mask:0xf
	v_cndmask_b32_e64 v37, 0, v37, s9
	s_delay_alu instid0(VALU_DEP_1) | instskip(NEXT) | instid1(VALU_DEP_1)
	v_add_nc_u32_e32 v8, v8, v37
	v_mov_b32_dpp v37, v8 row_shr:4 row_mask:0xf bank_mask:0xf
	s_delay_alu instid0(VALU_DEP_1) | instskip(NEXT) | instid1(VALU_DEP_1)
	v_cndmask_b32_e64 v37, 0, v37, s8
	v_add_nc_u32_e32 v8, v8, v37
	s_delay_alu instid0(VALU_DEP_1) | instskip(NEXT) | instid1(VALU_DEP_1)
	v_mov_b32_dpp v37, v8 row_shr:8 row_mask:0xf bank_mask:0xf
	v_cndmask_b32_e64 v37, 0, v37, s7
	s_delay_alu instid0(VALU_DEP_1) | instskip(SKIP_3) | instid1(VALU_DEP_1)
	v_add_nc_u32_e32 v8, v8, v37
	ds_swizzle_b32 v37, v8 offset:swizzle(BROADCAST,32,15)
	s_waitcnt lgkmcnt(0)
	v_cndmask_b32_e64 v37, v37, 0, s6
	v_add_nc_u32_e32 v44, v8, v37
	s_and_saveexec_b32 s12, s11
	s_cbranch_execz .LBB8_36
; %bb.35:
	ds_store_b32 v18, v44 offset:7488
.LBB8_36:
	s_or_b32 exec_lo, exec_lo, s12
	s_waitcnt lgkmcnt(0)
	s_barrier
	buffer_gl0_inv
	s_and_saveexec_b32 s12, s2
	s_cbranch_execz .LBB8_38
; %bb.37:
	ds_load_b32 v8, v19 offset:7488
	s_waitcnt lgkmcnt(0)
	v_mov_b32_dpp v37, v8 row_shr:1 row_mask:0xf bank_mask:0xf
	s_delay_alu instid0(VALU_DEP_1) | instskip(NEXT) | instid1(VALU_DEP_1)
	v_cndmask_b32_e64 v37, v37, 0, s5
	v_add_nc_u32_e32 v8, v37, v8
	s_delay_alu instid0(VALU_DEP_1) | instskip(NEXT) | instid1(VALU_DEP_1)
	v_mov_b32_dpp v37, v8 row_shr:2 row_mask:0xf bank_mask:0xf
	v_cndmask_b32_e64 v37, 0, v37, s4
	s_delay_alu instid0(VALU_DEP_1) | instskip(NEXT) | instid1(VALU_DEP_1)
	v_add_nc_u32_e32 v8, v8, v37
	v_mov_b32_dpp v37, v8 row_shr:4 row_mask:0xf bank_mask:0xf
	s_delay_alu instid0(VALU_DEP_1) | instskip(NEXT) | instid1(VALU_DEP_1)
	v_cndmask_b32_e64 v37, 0, v37, s3
	v_add_nc_u32_e32 v8, v8, v37
	ds_store_b32 v19, v8 offset:7488
.LBB8_38:
	s_or_b32 exec_lo, exec_lo, s12
	v_lshrrev_b32_e32 v41, 16, v1
	v_lshrrev_b32_e32 v40, 16, v2
	;; [unrolled: 1-line block ×4, first 2 shown]
	v_dual_mov_b32 v8, 0 :: v_dual_mov_b32 v45, 0
	s_waitcnt lgkmcnt(0)
	s_barrier
	buffer_gl0_inv
	s_and_saveexec_b32 s12, s1
	s_cbranch_execz .LBB8_40
; %bb.39:
	ds_load_b32 v45, v18 offset:7484
.LBB8_40:
	s_or_b32 exec_lo, exec_lo, s12
	s_waitcnt lgkmcnt(0)
	v_add_nc_u32_e32 v44, v45, v44
	ds_load_b32 v46, v8 offset:7516
	v_and_b32_e32 v26, 0xffff, v26
	v_and_b32_e32 v29, 0xffff, v29
	;; [unrolled: 1-line block ×3, first 2 shown]
	ds_bpermute_b32 v44, v17, v44
	v_and_b32_e32 v33, 0xffff, v33
	v_and_b32_e32 v34, 0xffff, v34
	;; [unrolled: 1-line block ×4, first 2 shown]
	v_lshlrev_b32_e32 v26, 1, v26
	s_waitcnt lgkmcnt(0)
	v_cndmask_b32_e64 v44, v44, v45, s0
	s_delay_alu instid0(VALU_DEP_1) | instskip(NEXT) | instid1(VALU_DEP_1)
	v_lshl_add_u32 v44, v46, 16, v44
	v_add_nc_u32_e32 v45, v44, v9
	s_delay_alu instid0(VALU_DEP_1) | instskip(NEXT) | instid1(VALU_DEP_1)
	v_add_nc_u32_e32 v9, v45, v10
	v_add_nc_u32_e32 v10, v9, v11
	s_delay_alu instid0(VALU_DEP_1) | instskip(NEXT) | instid1(VALU_DEP_1)
	v_add_nc_u32_e32 v11, v10, v12
	;; [unrolled: 3-line block ×3, first 2 shown]
	v_add_nc_u32_e32 v6, v5, v7
	v_and_b32_e32 v7, 0xffff, v42
	v_and_b32_e32 v42, 0xffff, v43
	ds_store_2addr_b64 v16, v[44:45], v[9:10] offset1:1
	ds_store_2addr_b64 v16, v[11:12], v[5:6] offset0:2 offset1:3
	s_waitcnt lgkmcnt(0)
	s_barrier
	buffer_gl0_inv
	ds_load_u16 v5, v22
	ds_load_u16 v6, v23
	;; [unrolled: 1-line block ×9, first 2 shown]
	v_lshlrev_b32_e32 v25, 1, v29
	v_lshlrev_b32_e32 v27, 1, v30
	v_lshlrev_b32_e32 v28, 1, v33
	v_lshlrev_b32_e32 v29, 1, v34
	v_lshlrev_b32_e32 v30, 1, v36
	v_lshlrev_b32_e32 v31, 1, v38
	v_lshlrev_b32_e32 v7, 1, v7
	v_lshlrev_b32_e32 v32, 1, v42
	s_waitcnt lgkmcnt(0)
	s_barrier
	buffer_gl0_inv
	v_lshl_add_u32 v5, v5, 1, v26
	v_lshl_add_u32 v6, v6, 1, v25
	;; [unrolled: 1-line block ×9, first 2 shown]
	ds_store_b16 v5, v1
	ds_store_b16 v6, v41
	ds_store_b16 v9, v2
	ds_store_b16 v10, v40
	ds_store_b16 v11, v3
	ds_store_b16 v12, v39
	ds_store_b16 v22, v4
	ds_store_b16 v7, v37
	ds_store_b16 v23, v21
	s_waitcnt lgkmcnt(0)
	s_barrier
	buffer_gl0_inv
	ds_load_b128 v[1:4], v15
	ds_load_u16 v21, v15 offset:16
	v_add_nc_u32_e32 v5, 0x700, v20
	s_waitcnt lgkmcnt(0)
	s_barrier
	buffer_gl0_inv
	ds_store_2addr_b32 v20, v8, v8 offset1:234
	ds_store_2addr_b32 v5, v8, v8 offset0:20 offset1:254
	s_and_saveexec_b32 s13, vcc_lo
	s_cbranch_execz .LBB8_45
; %bb.41:
	v_mov_b32_e32 v5, 0
	v_cmp_gt_u32_e64 s12, 0x2be, v0
	ds_store_b32 v20, v5 offset:3744
	s_and_b32 exec_lo, exec_lo, s12
	s_cbranch_execz .LBB8_45
; %bb.42:
	v_cmp_gt_u32_e64 s12, 0x1d4, v0
	ds_store_b32 v20, v5 offset:4680
	s_and_b32 exec_lo, exec_lo, s12
	s_cbranch_execz .LBB8_45
; %bb.43:
	v_mov_b32_e32 v5, 0
	v_cmp_gt_u32_e64 s12, 0xea, v0
	ds_store_b32 v20, v5 offset:5616
	s_and_b32 exec_lo, exec_lo, s12
	s_cbranch_execz .LBB8_45
; %bb.44:
	ds_store_b32 v20, v5 offset:6552
.LBB8_45:
	s_or_b32 exec_lo, exec_lo, s13
	v_lshrrev_b16 v5, 8, v1
	s_delay_alu instid0(VALU_DEP_1) | instskip(NEXT) | instid1(VALU_DEP_1)
	v_and_b32_e32 v5, 0xffff, v5
	v_and_b32_e32 v6, 7, v5
	v_lshrrev_b32_e32 v5, 2, v5
	s_delay_alu instid0(VALU_DEP_2) | instskip(NEXT) | instid1(VALU_DEP_2)
	v_mad_u32_u24 v6, 0xea, v6, v0
	v_and_b32_e32 v5, 2, v5
	s_delay_alu instid0(VALU_DEP_1)
	v_lshl_or_b32 v22, v6, 2, v5
	v_bfe_u32 v5, v1, 24, 3
	v_lshrrev_b32_e32 v6, 26, v1
	ds_load_u16 v26, v22
	v_mad_u32_u24 v5, 0xea, v5, v0
	v_and_b32_e32 v6, 2, v6
	s_delay_alu instid0(VALU_DEP_1) | instskip(SKIP_1) | instid1(VALU_DEP_1)
	v_lshl_or_b32 v23, v5, 2, v6
	v_lshrrev_b16 v5, 8, v2
	v_and_b32_e32 v5, 0xffff, v5
	s_delay_alu instid0(VALU_DEP_1) | instskip(SKIP_3) | instid1(VALU_DEP_3)
	v_and_b32_e32 v6, 7, v5
	v_lshrrev_b32_e32 v5, 2, v5
	s_waitcnt lgkmcnt(0)
	v_add_nc_u16 v7, v26, 1
	v_mad_u32_u24 v6, 0xea, v6, v0
	s_delay_alu instid0(VALU_DEP_3)
	v_and_b32_e32 v5, 2, v5
	ds_store_b16 v22, v7
	ds_load_u16 v29, v23
	v_lshl_or_b32 v24, v6, 2, v5
	v_bfe_u32 v5, v2, 24, 3
	v_lshrrev_b32_e32 v6, 26, v2
	s_delay_alu instid0(VALU_DEP_2) | instskip(NEXT) | instid1(VALU_DEP_2)
	v_mad_u32_u24 v5, 0xea, v5, v0
	v_and_b32_e32 v6, 2, v6
	s_delay_alu instid0(VALU_DEP_1) | instskip(SKIP_3) | instid1(VALU_DEP_2)
	v_lshl_or_b32 v25, v5, 2, v6
	v_lshrrev_b16 v5, 8, v3
	s_waitcnt lgkmcnt(0)
	v_add_nc_u16 v7, v29, 1
	v_and_b32_e32 v5, 0xffff, v5
	ds_store_b16 v23, v7
	ds_load_u16 v30, v24
	v_and_b32_e32 v6, 7, v5
	v_lshrrev_b32_e32 v5, 2, v5
	s_delay_alu instid0(VALU_DEP_2) | instskip(NEXT) | instid1(VALU_DEP_2)
	v_mad_u32_u24 v6, 0xea, v6, v0
	v_and_b32_e32 v5, 2, v5
	s_delay_alu instid0(VALU_DEP_1) | instskip(SKIP_2) | instid1(VALU_DEP_2)
	v_lshl_or_b32 v27, v6, 2, v5
	v_bfe_u32 v5, v3, 24, 3
	v_lshrrev_b32_e32 v6, 26, v3
	v_mad_u32_u24 v5, 0xea, v5, v0
	s_delay_alu instid0(VALU_DEP_2) | instskip(SKIP_2) | instid1(VALU_DEP_2)
	v_and_b32_e32 v6, 2, v6
	s_waitcnt lgkmcnt(0)
	v_add_nc_u16 v7, v30, 1
	v_lshl_or_b32 v28, v5, 2, v6
	ds_store_b16 v24, v7
	ds_load_u16 v33, v25
	v_lshrrev_b16 v5, 8, v4
	s_delay_alu instid0(VALU_DEP_1) | instskip(NEXT) | instid1(VALU_DEP_1)
	v_and_b32_e32 v5, 0xffff, v5
	v_and_b32_e32 v6, 7, v5
	v_lshrrev_b32_e32 v5, 2, v5
	s_delay_alu instid0(VALU_DEP_2) | instskip(NEXT) | instid1(VALU_DEP_2)
	v_mad_u32_u24 v6, 0xea, v6, v0
	v_and_b32_e32 v5, 2, v5
	s_waitcnt lgkmcnt(0)
	v_add_nc_u16 v7, v33, 1
	s_delay_alu instid0(VALU_DEP_2)
	v_lshl_or_b32 v31, v6, 2, v5
	v_bfe_u32 v5, v4, 24, 3
	v_lshrrev_b32_e32 v6, 26, v4
	ds_store_b16 v25, v7
	ds_load_u16 v34, v27
	v_mad_u32_u24 v5, 0xea, v5, v0
	v_and_b32_e32 v6, 2, v6
	s_delay_alu instid0(VALU_DEP_1) | instskip(SKIP_1) | instid1(VALU_DEP_1)
	v_lshl_or_b32 v32, v5, 2, v6
	v_lshrrev_b16 v5, 8, v21
	v_and_b32_e32 v5, 0xffff, v5
	s_delay_alu instid0(VALU_DEP_1) | instskip(SKIP_3) | instid1(VALU_DEP_3)
	v_and_b32_e32 v6, 7, v5
	s_waitcnt lgkmcnt(0)
	v_add_nc_u16 v7, v34, 1
	v_lshrrev_b32_e32 v5, 2, v5
	v_mad_u32_u24 v6, 0xea, v6, v0
	ds_store_b16 v27, v7
	ds_load_u16 v36, v28
	v_and_b32_e32 v5, 2, v5
	s_delay_alu instid0(VALU_DEP_1)
	v_lshl_or_b32 v35, v6, 2, v5
	s_waitcnt lgkmcnt(0)
	v_add_nc_u16 v7, v36, 1
	ds_store_b16 v28, v7
	ds_load_u16 v38, v31
	s_waitcnt lgkmcnt(0)
	v_add_nc_u16 v7, v38, 1
	ds_store_b16 v31, v7
	ds_load_u16 v42, v32
	;; [unrolled: 4-line block ×3, first 2 shown]
	s_waitcnt lgkmcnt(0)
	v_add_nc_u16 v5, v43, 1
	ds_store_b16 v35, v5
	s_waitcnt lgkmcnt(0)
	s_barrier
	buffer_gl0_inv
	ds_load_2addr_b64 v[9:12], v16 offset1:1
	ds_load_2addr_b64 v[5:8], v16 offset0:2 offset1:3
	s_waitcnt lgkmcnt(1)
	v_add_nc_u32_e32 v37, v10, v9
	s_delay_alu instid0(VALU_DEP_1) | instskip(SKIP_1) | instid1(VALU_DEP_1)
	v_add3_u32 v37, v37, v11, v12
	s_waitcnt lgkmcnt(0)
	v_add3_u32 v37, v37, v5, v6
	s_delay_alu instid0(VALU_DEP_1) | instskip(NEXT) | instid1(VALU_DEP_1)
	v_add3_u32 v8, v37, v7, v8
	v_mov_b32_dpp v37, v8 row_shr:1 row_mask:0xf bank_mask:0xf
	s_delay_alu instid0(VALU_DEP_1) | instskip(NEXT) | instid1(VALU_DEP_1)
	v_cndmask_b32_e64 v37, v37, 0, s10
	v_add_nc_u32_e32 v8, v37, v8
	s_delay_alu instid0(VALU_DEP_1) | instskip(NEXT) | instid1(VALU_DEP_1)
	v_mov_b32_dpp v37, v8 row_shr:2 row_mask:0xf bank_mask:0xf
	v_cndmask_b32_e64 v37, 0, v37, s9
	s_delay_alu instid0(VALU_DEP_1) | instskip(NEXT) | instid1(VALU_DEP_1)
	v_add_nc_u32_e32 v8, v8, v37
	v_mov_b32_dpp v37, v8 row_shr:4 row_mask:0xf bank_mask:0xf
	s_delay_alu instid0(VALU_DEP_1) | instskip(NEXT) | instid1(VALU_DEP_1)
	v_cndmask_b32_e64 v37, 0, v37, s8
	v_add_nc_u32_e32 v8, v8, v37
	s_delay_alu instid0(VALU_DEP_1) | instskip(NEXT) | instid1(VALU_DEP_1)
	v_mov_b32_dpp v37, v8 row_shr:8 row_mask:0xf bank_mask:0xf
	v_cndmask_b32_e64 v37, 0, v37, s7
	s_delay_alu instid0(VALU_DEP_1) | instskip(SKIP_3) | instid1(VALU_DEP_1)
	v_add_nc_u32_e32 v8, v8, v37
	ds_swizzle_b32 v37, v8 offset:swizzle(BROADCAST,32,15)
	s_waitcnt lgkmcnt(0)
	v_cndmask_b32_e64 v37, v37, 0, s6
	v_add_nc_u32_e32 v44, v8, v37
	s_and_saveexec_b32 s12, s11
	s_cbranch_execz .LBB8_47
; %bb.46:
	ds_store_b32 v18, v44 offset:7488
.LBB8_47:
	s_or_b32 exec_lo, exec_lo, s12
	s_waitcnt lgkmcnt(0)
	s_barrier
	buffer_gl0_inv
	s_and_saveexec_b32 s12, s2
	s_cbranch_execz .LBB8_49
; %bb.48:
	ds_load_b32 v8, v19 offset:7488
	s_waitcnt lgkmcnt(0)
	v_mov_b32_dpp v37, v8 row_shr:1 row_mask:0xf bank_mask:0xf
	s_delay_alu instid0(VALU_DEP_1) | instskip(NEXT) | instid1(VALU_DEP_1)
	v_cndmask_b32_e64 v37, v37, 0, s5
	v_add_nc_u32_e32 v8, v37, v8
	s_delay_alu instid0(VALU_DEP_1) | instskip(NEXT) | instid1(VALU_DEP_1)
	v_mov_b32_dpp v37, v8 row_shr:2 row_mask:0xf bank_mask:0xf
	v_cndmask_b32_e64 v37, 0, v37, s4
	s_delay_alu instid0(VALU_DEP_1) | instskip(NEXT) | instid1(VALU_DEP_1)
	v_add_nc_u32_e32 v8, v8, v37
	v_mov_b32_dpp v37, v8 row_shr:4 row_mask:0xf bank_mask:0xf
	s_delay_alu instid0(VALU_DEP_1) | instskip(NEXT) | instid1(VALU_DEP_1)
	v_cndmask_b32_e64 v37, 0, v37, s3
	v_add_nc_u32_e32 v8, v8, v37
	ds_store_b32 v19, v8 offset:7488
.LBB8_49:
	s_or_b32 exec_lo, exec_lo, s12
	v_lshrrev_b32_e32 v41, 16, v1
	v_lshrrev_b32_e32 v40, 16, v2
	;; [unrolled: 1-line block ×4, first 2 shown]
	v_dual_mov_b32 v8, 0 :: v_dual_mov_b32 v45, 0
	s_waitcnt lgkmcnt(0)
	s_barrier
	buffer_gl0_inv
	s_and_saveexec_b32 s12, s1
	s_cbranch_execz .LBB8_51
; %bb.50:
	ds_load_b32 v45, v18 offset:7484
.LBB8_51:
	s_or_b32 exec_lo, exec_lo, s12
	s_waitcnt lgkmcnt(0)
	v_add_nc_u32_e32 v44, v45, v44
	ds_load_b32 v46, v8 offset:7516
	v_and_b32_e32 v26, 0xffff, v26
	v_and_b32_e32 v29, 0xffff, v29
	;; [unrolled: 1-line block ×3, first 2 shown]
	ds_bpermute_b32 v44, v17, v44
	v_and_b32_e32 v33, 0xffff, v33
	v_and_b32_e32 v34, 0xffff, v34
	;; [unrolled: 1-line block ×4, first 2 shown]
	v_lshlrev_b32_e32 v26, 1, v26
	s_waitcnt lgkmcnt(0)
	v_cndmask_b32_e64 v44, v44, v45, s0
	s_delay_alu instid0(VALU_DEP_1) | instskip(NEXT) | instid1(VALU_DEP_1)
	v_lshl_add_u32 v44, v46, 16, v44
	v_add_nc_u32_e32 v45, v44, v9
	s_delay_alu instid0(VALU_DEP_1) | instskip(NEXT) | instid1(VALU_DEP_1)
	v_add_nc_u32_e32 v9, v45, v10
	v_add_nc_u32_e32 v10, v9, v11
	s_delay_alu instid0(VALU_DEP_1) | instskip(NEXT) | instid1(VALU_DEP_1)
	v_add_nc_u32_e32 v11, v10, v12
	v_add_nc_u32_e32 v12, v11, v5
	s_delay_alu instid0(VALU_DEP_1) | instskip(NEXT) | instid1(VALU_DEP_1)
	v_add_nc_u32_e32 v5, v12, v6
	v_add_nc_u32_e32 v6, v5, v7
	v_and_b32_e32 v7, 0xffff, v42
	v_and_b32_e32 v42, 0xffff, v43
	ds_store_2addr_b64 v16, v[44:45], v[9:10] offset1:1
	ds_store_2addr_b64 v16, v[11:12], v[5:6] offset0:2 offset1:3
	s_waitcnt lgkmcnt(0)
	s_barrier
	buffer_gl0_inv
	ds_load_u16 v5, v22
	ds_load_u16 v6, v23
	;; [unrolled: 1-line block ×9, first 2 shown]
	v_lshlrev_b32_e32 v25, 1, v29
	v_lshlrev_b32_e32 v27, 1, v30
	;; [unrolled: 1-line block ×8, first 2 shown]
	s_waitcnt lgkmcnt(0)
	s_barrier
	buffer_gl0_inv
	v_lshl_add_u32 v5, v5, 1, v26
	v_lshl_add_u32 v6, v6, 1, v25
	;; [unrolled: 1-line block ×9, first 2 shown]
	ds_store_b16 v5, v1
	ds_store_b16 v6, v41
	;; [unrolled: 1-line block ×9, first 2 shown]
	s_waitcnt lgkmcnt(0)
	s_barrier
	buffer_gl0_inv
	ds_load_b128 v[1:4], v15
	ds_load_u16 v21, v15 offset:16
	v_add_nc_u32_e32 v5, 0x700, v20
	s_waitcnt lgkmcnt(0)
	s_barrier
	buffer_gl0_inv
	ds_store_2addr_b32 v20, v8, v8 offset1:234
	ds_store_2addr_b32 v5, v8, v8 offset0:20 offset1:254
	s_and_saveexec_b32 s12, vcc_lo
	s_cbranch_execz .LBB8_56
; %bb.52:
	v_mov_b32_e32 v5, 0
	v_cmp_gt_u32_e32 vcc_lo, 0x2be, v0
	ds_store_b32 v20, v5 offset:3744
	s_and_b32 exec_lo, exec_lo, vcc_lo
	s_cbranch_execz .LBB8_56
; %bb.53:
	v_cmp_gt_u32_e32 vcc_lo, 0x1d4, v0
	ds_store_b32 v20, v5 offset:4680
	s_and_b32 exec_lo, exec_lo, vcc_lo
	s_cbranch_execz .LBB8_56
; %bb.54:
	v_mov_b32_e32 v5, 0
	v_cmp_gt_u32_e32 vcc_lo, 0xea, v0
	ds_store_b32 v20, v5 offset:5616
	s_and_b32 exec_lo, exec_lo, vcc_lo
	s_cbranch_execz .LBB8_56
; %bb.55:
	ds_store_b32 v20, v5 offset:6552
.LBB8_56:
	s_or_b32 exec_lo, exec_lo, s12
	v_lshrrev_b16 v5, 12, v1
	s_delay_alu instid0(VALU_DEP_1) | instskip(NEXT) | instid1(VALU_DEP_1)
	v_and_b32_e32 v5, 0xffff, v5
	v_and_b32_e32 v6, 7, v5
	v_lshrrev_b32_e32 v5, 2, v5
	s_delay_alu instid0(VALU_DEP_2) | instskip(NEXT) | instid1(VALU_DEP_2)
	v_mad_u32_u24 v6, 0xea, v6, v0
	v_and_b32_e32 v5, 2, v5
	s_delay_alu instid0(VALU_DEP_1)
	v_lshl_or_b32 v20, v6, 2, v5
	v_bfe_u32 v5, v1, 28, 3
	v_lshrrev_b32_e32 v6, 30, v1
	ds_load_u16 v23, v20
	v_mad_u32_u24 v5, 0xea, v5, v0
	v_and_b32_e32 v6, 2, v6
	s_delay_alu instid0(VALU_DEP_1) | instskip(SKIP_1) | instid1(VALU_DEP_1)
	v_lshl_or_b32 v22, v5, 2, v6
	v_lshrrev_b16 v5, 12, v2
	v_and_b32_e32 v5, 0xffff, v5
	s_delay_alu instid0(VALU_DEP_1) | instskip(SKIP_3) | instid1(VALU_DEP_3)
	v_and_b32_e32 v6, 7, v5
	v_lshrrev_b32_e32 v5, 2, v5
	s_waitcnt lgkmcnt(0)
	v_add_nc_u16 v7, v23, 1
	v_mad_u32_u24 v6, 0xea, v6, v0
	s_delay_alu instid0(VALU_DEP_3)
	v_and_b32_e32 v5, 2, v5
	ds_store_b16 v20, v7
	ds_load_u16 v26, v22
	v_lshl_or_b32 v24, v6, 2, v5
	v_bfe_u32 v5, v2, 28, 3
	v_lshrrev_b32_e32 v6, 30, v2
	s_delay_alu instid0(VALU_DEP_2) | instskip(NEXT) | instid1(VALU_DEP_2)
	v_mad_u32_u24 v5, 0xea, v5, v0
	v_and_b32_e32 v6, 2, v6
	s_delay_alu instid0(VALU_DEP_1) | instskip(SKIP_3) | instid1(VALU_DEP_2)
	v_lshl_or_b32 v25, v5, 2, v6
	v_lshrrev_b16 v5, 12, v3
	s_waitcnt lgkmcnt(0)
	v_add_nc_u16 v7, v26, 1
	v_and_b32_e32 v5, 0xffff, v5
	ds_store_b16 v22, v7
	ds_load_u16 v28, v24
	v_and_b32_e32 v6, 7, v5
	v_lshrrev_b32_e32 v5, 2, v5
	s_delay_alu instid0(VALU_DEP_2) | instskip(NEXT) | instid1(VALU_DEP_2)
	v_mad_u32_u24 v6, 0xea, v6, v0
	v_and_b32_e32 v5, 2, v5
	s_delay_alu instid0(VALU_DEP_1) | instskip(SKIP_2) | instid1(VALU_DEP_2)
	v_lshl_or_b32 v30, v6, 2, v5
	v_bfe_u32 v5, v3, 28, 3
	v_lshrrev_b32_e32 v6, 30, v3
	v_mad_u32_u24 v5, 0xea, v5, v0
	s_delay_alu instid0(VALU_DEP_2) | instskip(SKIP_2) | instid1(VALU_DEP_2)
	v_and_b32_e32 v6, 2, v6
	s_waitcnt lgkmcnt(0)
	v_add_nc_u16 v7, v28, 1
	v_lshl_or_b32 v32, v5, 2, v6
	ds_store_b16 v24, v7
	ds_load_u16 v27, v25
	v_lshrrev_b16 v5, 12, v4
	s_delay_alu instid0(VALU_DEP_1) | instskip(NEXT) | instid1(VALU_DEP_1)
	v_and_b32_e32 v5, 0xffff, v5
	v_and_b32_e32 v6, 7, v5
	v_lshrrev_b32_e32 v5, 2, v5
	s_delay_alu instid0(VALU_DEP_2) | instskip(NEXT) | instid1(VALU_DEP_2)
	v_mad_u32_u24 v6, 0xea, v6, v0
	v_and_b32_e32 v5, 2, v5
	s_waitcnt lgkmcnt(0)
	v_add_nc_u16 v7, v27, 1
	s_delay_alu instid0(VALU_DEP_2)
	v_lshl_or_b32 v34, v6, 2, v5
	v_bfe_u32 v5, v4, 28, 3
	v_lshrrev_b32_e32 v6, 30, v4
	ds_store_b16 v25, v7
	ds_load_u16 v29, v30
	v_mad_u32_u24 v5, 0xea, v5, v0
	v_and_b32_e32 v6, 2, v6
	s_delay_alu instid0(VALU_DEP_1) | instskip(SKIP_1) | instid1(VALU_DEP_1)
	v_lshl_or_b32 v36, v5, 2, v6
	v_lshrrev_b16 v5, 12, v21
	v_and_b32_e32 v5, 0xffff, v5
	s_delay_alu instid0(VALU_DEP_1) | instskip(SKIP_3) | instid1(VALU_DEP_3)
	v_and_b32_e32 v6, 7, v5
	s_waitcnt lgkmcnt(0)
	v_add_nc_u16 v7, v29, 1
	v_lshrrev_b32_e32 v5, 2, v5
	v_mad_u32_u24 v0, 0xea, v6, v0
	ds_store_b16 v30, v7
	ds_load_u16 v31, v32
	v_and_b32_e32 v5, 2, v5
	s_delay_alu instid0(VALU_DEP_1)
	v_lshl_or_b32 v0, v0, 2, v5
	s_waitcnt lgkmcnt(0)
	v_add_nc_u16 v7, v31, 1
	ds_store_b16 v32, v7
	ds_load_u16 v33, v34
	s_waitcnt lgkmcnt(0)
	v_add_nc_u16 v7, v33, 1
	ds_store_b16 v34, v7
	ds_load_u16 v35, v36
	;; [unrolled: 4-line block ×3, first 2 shown]
	s_waitcnt lgkmcnt(0)
	v_add_nc_u16 v5, v37, 1
	ds_store_b16 v0, v5
	s_waitcnt lgkmcnt(0)
	s_barrier
	buffer_gl0_inv
	ds_load_2addr_b64 v[9:12], v16 offset1:1
	ds_load_2addr_b64 v[5:8], v16 offset0:2 offset1:3
	s_waitcnt lgkmcnt(1)
	v_add_nc_u32_e32 v38, v10, v9
	s_delay_alu instid0(VALU_DEP_1) | instskip(SKIP_1) | instid1(VALU_DEP_1)
	v_add3_u32 v38, v38, v11, v12
	s_waitcnt lgkmcnt(0)
	v_add3_u32 v38, v38, v5, v6
	s_delay_alu instid0(VALU_DEP_1) | instskip(NEXT) | instid1(VALU_DEP_1)
	v_add3_u32 v8, v38, v7, v8
	v_mov_b32_dpp v38, v8 row_shr:1 row_mask:0xf bank_mask:0xf
	s_delay_alu instid0(VALU_DEP_1) | instskip(NEXT) | instid1(VALU_DEP_1)
	v_cndmask_b32_e64 v38, v38, 0, s10
	v_add_nc_u32_e32 v8, v38, v8
	s_delay_alu instid0(VALU_DEP_1) | instskip(NEXT) | instid1(VALU_DEP_1)
	v_mov_b32_dpp v38, v8 row_shr:2 row_mask:0xf bank_mask:0xf
	v_cndmask_b32_e64 v38, 0, v38, s9
	s_delay_alu instid0(VALU_DEP_1) | instskip(NEXT) | instid1(VALU_DEP_1)
	v_add_nc_u32_e32 v8, v8, v38
	v_mov_b32_dpp v38, v8 row_shr:4 row_mask:0xf bank_mask:0xf
	s_delay_alu instid0(VALU_DEP_1) | instskip(NEXT) | instid1(VALU_DEP_1)
	v_cndmask_b32_e64 v38, 0, v38, s8
	v_add_nc_u32_e32 v8, v8, v38
	s_delay_alu instid0(VALU_DEP_1) | instskip(NEXT) | instid1(VALU_DEP_1)
	v_mov_b32_dpp v38, v8 row_shr:8 row_mask:0xf bank_mask:0xf
	v_cndmask_b32_e64 v38, 0, v38, s7
	s_delay_alu instid0(VALU_DEP_1) | instskip(SKIP_3) | instid1(VALU_DEP_1)
	v_add_nc_u32_e32 v8, v8, v38
	ds_swizzle_b32 v38, v8 offset:swizzle(BROADCAST,32,15)
	s_waitcnt lgkmcnt(0)
	v_cndmask_b32_e64 v38, v38, 0, s6
	v_add_nc_u32_e32 v40, v8, v38
	s_and_saveexec_b32 s6, s11
	s_cbranch_execz .LBB8_58
; %bb.57:
	ds_store_b32 v18, v40 offset:7488
.LBB8_58:
	s_or_b32 exec_lo, exec_lo, s6
	s_waitcnt lgkmcnt(0)
	s_barrier
	buffer_gl0_inv
	s_and_saveexec_b32 s6, s2
	s_cbranch_execz .LBB8_60
; %bb.59:
	ds_load_b32 v8, v19 offset:7488
	s_waitcnt lgkmcnt(0)
	v_mov_b32_dpp v38, v8 row_shr:1 row_mask:0xf bank_mask:0xf
	s_delay_alu instid0(VALU_DEP_1) | instskip(NEXT) | instid1(VALU_DEP_1)
	v_cndmask_b32_e64 v38, v38, 0, s5
	v_add_nc_u32_e32 v8, v38, v8
	s_delay_alu instid0(VALU_DEP_1) | instskip(NEXT) | instid1(VALU_DEP_1)
	v_mov_b32_dpp v38, v8 row_shr:2 row_mask:0xf bank_mask:0xf
	v_cndmask_b32_e64 v38, 0, v38, s4
	s_delay_alu instid0(VALU_DEP_1) | instskip(NEXT) | instid1(VALU_DEP_1)
	v_add_nc_u32_e32 v8, v8, v38
	v_mov_b32_dpp v38, v8 row_shr:4 row_mask:0xf bank_mask:0xf
	s_delay_alu instid0(VALU_DEP_1) | instskip(NEXT) | instid1(VALU_DEP_1)
	v_cndmask_b32_e64 v38, 0, v38, s3
	v_add_nc_u32_e32 v8, v8, v38
	ds_store_b32 v19, v8 offset:7488
.LBB8_60:
	s_or_b32 exec_lo, exec_lo, s6
	v_lshrrev_b32_e32 v39, 16, v1
	v_lshrrev_b32_e32 v38, 16, v2
	;; [unrolled: 1-line block ×4, first 2 shown]
	v_dual_mov_b32 v41, 0 :: v_dual_mov_b32 v42, 0
	s_waitcnt lgkmcnt(0)
	s_barrier
	buffer_gl0_inv
	s_and_saveexec_b32 s2, s1
	s_cbranch_execz .LBB8_62
; %bb.61:
	ds_load_b32 v42, v18 offset:7484
.LBB8_62:
	s_or_b32 exec_lo, exec_lo, s2
	s_waitcnt lgkmcnt(0)
	v_add_nc_u32_e32 v18, v42, v40
	ds_bpermute_b32 v17, v17, v18
	ds_load_b32 v18, v41 offset:7516
	s_waitcnt lgkmcnt(1)
	v_cndmask_b32_e64 v17, v17, v42, s0
	s_waitcnt lgkmcnt(0)
	s_delay_alu instid0(VALU_DEP_1) | instskip(NEXT) | instid1(VALU_DEP_1)
	v_lshl_add_u32 v17, v18, 16, v17
	v_add_nc_u32_e32 v18, v17, v9
	s_delay_alu instid0(VALU_DEP_1) | instskip(NEXT) | instid1(VALU_DEP_1)
	v_add_nc_u32_e32 v9, v18, v10
	v_add_nc_u32_e32 v10, v9, v11
	s_delay_alu instid0(VALU_DEP_1) | instskip(NEXT) | instid1(VALU_DEP_1)
	v_add_nc_u32_e32 v11, v10, v12
	;; [unrolled: 3-line block ×3, first 2 shown]
	v_add_nc_u32_e32 v6, v5, v7
	v_and_b32_e32 v7, 0xffff, v23
	v_and_b32_e32 v23, 0xffff, v26
	;; [unrolled: 1-line block ×3, first 2 shown]
	ds_store_2addr_b64 v16, v[17:18], v[9:10] offset1:1
	ds_store_2addr_b64 v16, v[11:12], v[5:6] offset0:2 offset1:3
	s_waitcnt lgkmcnt(0)
	s_barrier
	buffer_gl0_inv
	ds_load_u16 v5, v36
	ds_load_u16 v6, v34
	;; [unrolled: 1-line block ×9, first 2 shown]
	v_and_b32_e32 v18, 0xffff, v27
	v_and_b32_e32 v20, 0xffff, v29
	;; [unrolled: 1-line block ×6, first 2 shown]
	v_lshlrev_b32_e32 v7, 1, v7
	v_lshlrev_b32_e32 v23, 1, v23
	;; [unrolled: 1-line block ×9, first 2 shown]
	s_waitcnt lgkmcnt(4)
	v_lshl_add_u32 v11, v11, 1, v18
	s_waitcnt lgkmcnt(3)
	v_lshl_add_u32 v12, v12, 1, v26
	s_waitcnt lgkmcnt(2)
	v_lshl_add_u32 v16, v16, 1, v23
	s_waitcnt lgkmcnt(1)
	v_lshl_add_u32 v7, v17, 1, v7
	v_lshl_add_u32 v10, v10, 1, v20
	s_waitcnt lgkmcnt(0)
	s_barrier
	buffer_gl0_inv
	v_lshl_add_u32 v9, v9, 1, v22
	v_lshl_add_u32 v6, v6, 1, v24
	v_lshl_add_u32 v5, v5, 1, v25
	v_lshl_add_u32 v0, v0, 1, v27
	ds_store_b16 v7, v1
	ds_store_b16 v16, v39
	;; [unrolled: 1-line block ×9, first 2 shown]
	s_waitcnt lgkmcnt(0)
	s_barrier
.LBB8_63:
	buffer_gl0_inv
	ds_load_b128 v[0:3], v15
	ds_load_u16 v4, v15 offset:16
	s_waitcnt lgkmcnt(1)
	v_xor_b32_e32 v0, 0x80008000, v0
	v_xor_b32_e32 v1, 0x80008000, v1
	;; [unrolled: 1-line block ×4, first 2 shown]
	s_waitcnt lgkmcnt(0)
	v_xor_b32_e32 v4, 0xffff8000, v4
	s_clause 0x1
	global_store_b128 v[13:14], v[0:3], off
	global_store_b16 v[13:14], v4, off offset:16
	s_nop 0
	s_sendmsg sendmsg(MSG_DEALLOC_VGPRS)
	s_endpgm
	.section	.rodata,"a",@progbits
	.p2align	6, 0x0
	.amdhsa_kernel _Z15sort_key_kernelILj234ELj9ELb0ELb0EsEvPT3_jj
		.amdhsa_group_segment_fixed_size 7520
		.amdhsa_private_segment_fixed_size 0
		.amdhsa_kernarg_size 16
		.amdhsa_user_sgpr_count 15
		.amdhsa_user_sgpr_dispatch_ptr 0
		.amdhsa_user_sgpr_queue_ptr 0
		.amdhsa_user_sgpr_kernarg_segment_ptr 1
		.amdhsa_user_sgpr_dispatch_id 0
		.amdhsa_user_sgpr_private_segment_size 0
		.amdhsa_wavefront_size32 1
		.amdhsa_uses_dynamic_stack 0
		.amdhsa_enable_private_segment 0
		.amdhsa_system_sgpr_workgroup_id_x 1
		.amdhsa_system_sgpr_workgroup_id_y 0
		.amdhsa_system_sgpr_workgroup_id_z 0
		.amdhsa_system_sgpr_workgroup_info 0
		.amdhsa_system_vgpr_workitem_id 0
		.amdhsa_next_free_vgpr 55
		.amdhsa_next_free_sgpr 20
		.amdhsa_reserve_vcc 1
		.amdhsa_float_round_mode_32 0
		.amdhsa_float_round_mode_16_64 0
		.amdhsa_float_denorm_mode_32 3
		.amdhsa_float_denorm_mode_16_64 3
		.amdhsa_dx10_clamp 1
		.amdhsa_ieee_mode 1
		.amdhsa_fp16_overflow 0
		.amdhsa_workgroup_processor_mode 1
		.amdhsa_memory_ordered 1
		.amdhsa_forward_progress 0
		.amdhsa_shared_vgpr_count 0
		.amdhsa_exception_fp_ieee_invalid_op 0
		.amdhsa_exception_fp_denorm_src 0
		.amdhsa_exception_fp_ieee_div_zero 0
		.amdhsa_exception_fp_ieee_overflow 0
		.amdhsa_exception_fp_ieee_underflow 0
		.amdhsa_exception_fp_ieee_inexact 0
		.amdhsa_exception_int_div_zero 0
	.end_amdhsa_kernel
	.section	.text._Z15sort_key_kernelILj234ELj9ELb0ELb0EsEvPT3_jj,"axG",@progbits,_Z15sort_key_kernelILj234ELj9ELb0ELb0EsEvPT3_jj,comdat
.Lfunc_end8:
	.size	_Z15sort_key_kernelILj234ELj9ELb0ELb0EsEvPT3_jj, .Lfunc_end8-_Z15sort_key_kernelILj234ELj9ELb0ELb0EsEvPT3_jj
                                        ; -- End function
	.section	.AMDGPU.csdata,"",@progbits
; Kernel info:
; codeLenInByte = 9356
; NumSgprs: 22
; NumVgprs: 55
; ScratchSize: 0
; MemoryBound: 0
; FloatMode: 240
; IeeeMode: 1
; LDSByteSize: 7520 bytes/workgroup (compile time only)
; SGPRBlocks: 2
; VGPRBlocks: 6
; NumSGPRsForWavesPerEU: 22
; NumVGPRsForWavesPerEU: 55
; Occupancy: 16
; WaveLimiterHint : 0
; COMPUTE_PGM_RSRC2:SCRATCH_EN: 0
; COMPUTE_PGM_RSRC2:USER_SGPR: 15
; COMPUTE_PGM_RSRC2:TRAP_HANDLER: 0
; COMPUTE_PGM_RSRC2:TGID_X_EN: 1
; COMPUTE_PGM_RSRC2:TGID_Y_EN: 0
; COMPUTE_PGM_RSRC2:TGID_Z_EN: 0
; COMPUTE_PGM_RSRC2:TIDIG_COMP_CNT: 0
	.section	.text._Z15sort_key_kernelILj100ELj3ELb0ELb0EtEvPT3_jj,"axG",@progbits,_Z15sort_key_kernelILj100ELj3ELb0ELb0EtEvPT3_jj,comdat
	.protected	_Z15sort_key_kernelILj100ELj3ELb0ELb0EtEvPT3_jj ; -- Begin function _Z15sort_key_kernelILj100ELj3ELb0ELb0EtEvPT3_jj
	.globl	_Z15sort_key_kernelILj100ELj3ELb0ELb0EtEvPT3_jj
	.p2align	8
	.type	_Z15sort_key_kernelILj100ELj3ELb0ELb0EtEvPT3_jj,@function
_Z15sort_key_kernelILj100ELj3ELb0ELb0EtEvPT3_jj: ; @_Z15sort_key_kernelILj100ELj3ELb0ELb0EtEvPT3_jj
; %bb.0:
	s_load_b128 s[20:23], s[0:1], 0x0
	v_mul_u32_u24_e32 v1, 3, v0
	s_mov_b32 s1, 0
	s_mul_i32 s0, s15, 0x12c
	v_mbcnt_lo_u32_b32 v2, -1, 0
	s_lshl_b64 s[0:1], s[0:1], 1
	v_lshlrev_b32_e32 v1, 1, v1
	v_and_b32_e32 v3, 0x60, v0
	v_lshlrev_b32_e32 v19, 1, v0
	v_add_nc_u32_e32 v4, -1, v2
	v_and_b32_e32 v5, 16, v2
	v_cmp_gt_u32_e64 s11, 0x320, v0
	v_min_u32_e32 v3, 0x44, v3
	v_lshlrev_b32_e32 v16, 2, v0
	v_cmp_gt_i32_e32 vcc_lo, 0, v4
	v_lshlrev_b32_e32 v12, 5, v0
	v_cmp_eq_u32_e64 s10, 0, v5
	v_add_nc_u32_e32 v3, 31, v3
	s_mov_b32 s13, -1
	s_waitcnt lgkmcnt(0)
	s_add_u32 s0, s20, s0
	s_addc_u32 s1, s21, s1
	s_cmp_eq_u32 s22, 0
	s_clause 0x1
	global_load_b32 v18, v1, s[0:1]
	global_load_u16 v17, v1, s[0:1] offset:4
	v_add_co_u32 v9, s0, s0, v1
	v_and_b32_e32 v1, 15, v2
	s_cselect_b32 s2, -1, 0
	s_cmp_eq_u32 s23, 16
	v_cmp_eq_u32_e64 s7, v3, v0
	v_and_b32_e32 v3, 3, v2
	v_cmp_eq_u32_e64 s6, 0, v1
	v_cmp_lt_u32_e64 s5, 1, v1
	v_cmp_lt_u32_e64 s8, 3, v1
	;; [unrolled: 1-line block ×3, first 2 shown]
	v_cndmask_b32_e32 v1, v4, v2, vcc_lo
	v_mad_i32_i24 v15, 0xffffffe4, v0, v12
	v_add_co_ci_u32_e64 v10, null, s1, 0, s0
	s_cselect_b32 s0, -1, 0
	s_delay_alu instid0(VALU_DEP_3)
	v_lshlrev_b32_e32 v13, 2, v1
	v_lshrrev_b32_e32 v1, 3, v0
	s_and_b32 s12, s2, s0
	v_cmp_gt_u32_e64 s2, 4, v0
	v_cmp_lt_u32_e64 s1, 31, v0
	v_cmp_eq_u32_e64 s0, 0, v2
	v_and_b32_e32 v14, 12, v1
	v_cmp_eq_u32_e64 s4, 0, v3
	v_cmp_lt_u32_e64 s3, 1, v3
	v_add_nc_u32_e32 v11, v15, v19
	s_and_b32 vcc_lo, exec_lo, s12
	v_cmp_gt_u32_e64 s12, 0x2bc, v0
	s_cbranch_vccnz .LBB9_21
; %bb.1:
	v_cmp_gt_u32_e64 s13, 0x258, v0
	v_cmp_gt_u32_e64 s14, 0x1f4, v0
	;; [unrolled: 1-line block ×6, first 2 shown]
	s_waitcnt vmcnt(0)
	v_dual_mov_b32 v20, 0 :: v_dual_mov_b32 v5, v17
	v_mov_b32_e32 v22, v18
	s_sub_i32 s19, s23, s22
	s_branch .LBB9_3
.LBB9_2:                                ;   in Loop: Header=BB9_3 Depth=1
	s_barrier
	buffer_gl0_inv
	ds_store_b16 v2, v22
	ds_store_b16 v3, v23
	;; [unrolled: 1-line block ×3, first 2 shown]
	s_waitcnt lgkmcnt(0)
	s_barrier
	buffer_gl0_inv
	ds_load_b32 v22, v11
	ds_load_u16 v5, v11 offset:4
	s_add_i32 s19, s19, -4
	s_waitcnt lgkmcnt(0)
	s_barrier
	buffer_gl0_inv
	s_cbranch_execz .LBB9_20
.LBB9_3:                                ; =>This Inner Loop Header: Depth=1
	s_delay_alu instid0(VALU_DEP_2)
	v_mov_b32_e32 v21, v5
	s_and_saveexec_b32 s20, s11
	s_cbranch_execz .LBB9_12
; %bb.4:                                ;   in Loop: Header=BB9_3 Depth=1
	ds_store_b32 v16, v20
	s_and_b32 exec_lo, exec_lo, s12
	s_cbranch_execz .LBB9_12
; %bb.5:                                ;   in Loop: Header=BB9_3 Depth=1
	ds_store_b32 v16, v20 offset:400
	s_and_b32 exec_lo, exec_lo, s13
	s_cbranch_execz .LBB9_12
; %bb.6:                                ;   in Loop: Header=BB9_3 Depth=1
	ds_store_b32 v16, v20 offset:800
	;; [unrolled: 4-line block ×5, first 2 shown]
	s_and_b32 exec_lo, exec_lo, s17
	s_cbranch_execz .LBB9_12
; %bb.10:                               ;   in Loop: Header=BB9_3 Depth=1
	ds_store_b32 v16, v20 offset:2400
	s_and_b32 exec_lo, exec_lo, s18
	s_cbranch_execz .LBB9_12
; %bb.11:                               ;   in Loop: Header=BB9_3 Depth=1
	ds_store_b32 v16, v20 offset:2800
.LBB9_12:                               ;   in Loop: Header=BB9_3 Depth=1
	s_or_b32 exec_lo, exec_lo, s20
	v_and_b32_e32 v1, 0xffff, v22
	s_min_u32 s20, s19, 4
	v_lshrrev_b32_e32 v23, 16, v22
	s_lshl_b32 s20, -1, s20
	v_and_b32_e32 v3, 0xffff, v21
	v_lshrrev_b32_e32 v1, s22, v1
	s_not_b32 s20, s20
	s_delay_alu instid0(VALU_DEP_1) | instid1(SALU_CYCLE_1)
	v_and_b32_e32 v1, s20, v1
	s_delay_alu instid0(VALU_DEP_1) | instskip(SKIP_1) | instid1(VALU_DEP_2)
	v_and_b32_e32 v2, 7, v1
	v_lshrrev_b32_e32 v1, 3, v1
	v_mul_u32_u24_e32 v2, 0x64, v2
	s_delay_alu instid0(VALU_DEP_1) | instskip(NEXT) | instid1(VALU_DEP_1)
	v_add_lshl_u32 v2, v2, v0, 1
	v_add_lshl_u32 v25, v2, v1, 1
	v_lshrrev_b32_e32 v1, s22, v23
	ds_load_u16 v24, v25
	v_and_b32_e32 v1, s20, v1
	s_delay_alu instid0(VALU_DEP_1) | instskip(SKIP_1) | instid1(VALU_DEP_2)
	v_and_b32_e32 v2, 7, v1
	v_lshrrev_b32_e32 v1, 3, v1
	v_mul_u32_u24_e32 v2, 0x64, v2
	s_delay_alu instid0(VALU_DEP_1) | instskip(SKIP_2) | instid1(VALU_DEP_2)
	v_add_lshl_u32 v2, v2, v0, 1
	s_waitcnt lgkmcnt(0)
	v_add_nc_u16 v4, v24, 1
	v_add_lshl_u32 v26, v2, v1, 1
	v_lshrrev_b32_e32 v1, s22, v3
	ds_store_b16 v25, v4
	ds_load_u16 v27, v26
	v_and_b32_e32 v1, s20, v1
	s_delay_alu instid0(VALU_DEP_1) | instskip(SKIP_1) | instid1(VALU_DEP_2)
	v_and_b32_e32 v2, 7, v1
	v_lshrrev_b32_e32 v1, 3, v1
	v_mul_u32_u24_e32 v2, 0x64, v2
	s_delay_alu instid0(VALU_DEP_1) | instskip(SKIP_2) | instid1(VALU_DEP_2)
	v_add_lshl_u32 v2, v2, v0, 1
	s_waitcnt lgkmcnt(0)
	v_add_nc_u16 v3, v27, 1
	v_add_lshl_u32 v29, v2, v1, 1
	ds_store_b16 v26, v3
	ds_load_u16 v28, v29
	s_waitcnt lgkmcnt(0)
	v_add_nc_u16 v1, v28, 1
	ds_store_b16 v29, v1
	s_waitcnt lgkmcnt(0)
	s_barrier
	buffer_gl0_inv
	ds_load_2addr_b64 v[5:8], v12 offset1:1
	ds_load_2addr_b64 v[1:4], v12 offset0:2 offset1:3
	s_waitcnt lgkmcnt(1)
	v_add_nc_u32_e32 v30, v6, v5
	s_delay_alu instid0(VALU_DEP_1) | instskip(SKIP_1) | instid1(VALU_DEP_1)
	v_add3_u32 v30, v30, v7, v8
	s_waitcnt lgkmcnt(0)
	v_add3_u32 v30, v30, v1, v2
	s_delay_alu instid0(VALU_DEP_1) | instskip(NEXT) | instid1(VALU_DEP_1)
	v_add3_u32 v4, v30, v3, v4
	v_mov_b32_dpp v30, v4 row_shr:1 row_mask:0xf bank_mask:0xf
	s_delay_alu instid0(VALU_DEP_1) | instskip(NEXT) | instid1(VALU_DEP_1)
	v_cndmask_b32_e64 v30, v30, 0, s6
	v_add_nc_u32_e32 v4, v30, v4
	s_delay_alu instid0(VALU_DEP_1) | instskip(NEXT) | instid1(VALU_DEP_1)
	v_mov_b32_dpp v30, v4 row_shr:2 row_mask:0xf bank_mask:0xf
	v_cndmask_b32_e64 v30, 0, v30, s5
	s_delay_alu instid0(VALU_DEP_1) | instskip(NEXT) | instid1(VALU_DEP_1)
	v_add_nc_u32_e32 v4, v4, v30
	v_mov_b32_dpp v30, v4 row_shr:4 row_mask:0xf bank_mask:0xf
	s_delay_alu instid0(VALU_DEP_1) | instskip(NEXT) | instid1(VALU_DEP_1)
	v_cndmask_b32_e64 v30, 0, v30, s8
	v_add_nc_u32_e32 v4, v4, v30
	s_delay_alu instid0(VALU_DEP_1) | instskip(NEXT) | instid1(VALU_DEP_1)
	v_mov_b32_dpp v30, v4 row_shr:8 row_mask:0xf bank_mask:0xf
	v_cndmask_b32_e64 v30, 0, v30, s9
	s_delay_alu instid0(VALU_DEP_1) | instskip(SKIP_3) | instid1(VALU_DEP_1)
	v_add_nc_u32_e32 v4, v4, v30
	ds_swizzle_b32 v30, v4 offset:swizzle(BROADCAST,32,15)
	s_waitcnt lgkmcnt(0)
	v_cndmask_b32_e64 v30, v30, 0, s10
	v_add_nc_u32_e32 v4, v4, v30
	s_and_saveexec_b32 s20, s7
	s_cbranch_execz .LBB9_14
; %bb.13:                               ;   in Loop: Header=BB9_3 Depth=1
	ds_store_b32 v14, v4 offset:3200
.LBB9_14:                               ;   in Loop: Header=BB9_3 Depth=1
	s_or_b32 exec_lo, exec_lo, s20
	s_waitcnt lgkmcnt(0)
	s_barrier
	buffer_gl0_inv
	s_and_saveexec_b32 s20, s2
	s_cbranch_execz .LBB9_16
; %bb.15:                               ;   in Loop: Header=BB9_3 Depth=1
	ds_load_b32 v30, v15 offset:3200
	s_waitcnt lgkmcnt(0)
	v_mov_b32_dpp v31, v30 row_shr:1 row_mask:0xf bank_mask:0xf
	s_delay_alu instid0(VALU_DEP_1) | instskip(NEXT) | instid1(VALU_DEP_1)
	v_cndmask_b32_e64 v31, v31, 0, s4
	v_add_nc_u32_e32 v30, v31, v30
	s_delay_alu instid0(VALU_DEP_1) | instskip(NEXT) | instid1(VALU_DEP_1)
	v_mov_b32_dpp v31, v30 row_shr:2 row_mask:0xf bank_mask:0xf
	v_cndmask_b32_e64 v31, 0, v31, s3
	s_delay_alu instid0(VALU_DEP_1)
	v_add_nc_u32_e32 v30, v30, v31
	ds_store_b32 v15, v30 offset:3200
.LBB9_16:                               ;   in Loop: Header=BB9_3 Depth=1
	s_or_b32 exec_lo, exec_lo, s20
	v_mov_b32_e32 v30, 0
	s_waitcnt lgkmcnt(0)
	s_barrier
	buffer_gl0_inv
	s_and_saveexec_b32 s20, s1
	s_cbranch_execz .LBB9_18
; %bb.17:                               ;   in Loop: Header=BB9_3 Depth=1
	ds_load_b32 v30, v14 offset:3196
.LBB9_18:                               ;   in Loop: Header=BB9_3 Depth=1
	s_or_b32 exec_lo, exec_lo, s20
	s_waitcnt lgkmcnt(0)
	v_add_nc_u32_e32 v4, v30, v4
	ds_load_b32 v31, v20 offset:3212
	s_add_i32 s22, s22, 4
	s_delay_alu instid0(SALU_CYCLE_1) | instskip(SKIP_3) | instid1(VALU_DEP_1)
	s_cmp_ge_u32 s22, s23
	ds_bpermute_b32 v4, v13, v4
	s_waitcnt lgkmcnt(0)
	v_cndmask_b32_e64 v4, v4, v30, s0
	v_lshl_add_u32 v4, v31, 16, v4
	s_delay_alu instid0(VALU_DEP_1) | instskip(NEXT) | instid1(VALU_DEP_1)
	v_add_nc_u32_e32 v5, v4, v5
	v_add_nc_u32_e32 v6, v5, v6
	s_delay_alu instid0(VALU_DEP_1) | instskip(NEXT) | instid1(VALU_DEP_1)
	v_add_nc_u32_e32 v7, v6, v7
	v_add_nc_u32_e32 v30, v7, v8
	;; [unrolled: 3-line block ×3, first 2 shown]
	s_delay_alu instid0(VALU_DEP_1)
	v_add_nc_u32_e32 v2, v1, v3
	ds_store_2addr_b64 v12, v[4:5], v[6:7] offset1:1
	ds_store_2addr_b64 v12, v[30:31], v[1:2] offset0:2 offset1:3
	s_waitcnt lgkmcnt(0)
	s_barrier
	buffer_gl0_inv
	ds_load_u16 v2, v25
	ds_load_u16 v3, v26
	;; [unrolled: 1-line block ×3, first 2 shown]
	v_and_b32_e32 v1, 0xffff, v24
	v_and_b32_e32 v5, 0xffff, v27
	;; [unrolled: 1-line block ×3, first 2 shown]
	s_waitcnt lgkmcnt(0)
	s_delay_alu instid0(VALU_DEP_3) | instskip(SKIP_3) | instid1(VALU_DEP_4)
	v_lshlrev_b32_e32 v7, 1, v1
	v_mov_b32_e32 v1, v22
	v_lshlrev_b32_e32 v5, 1, v5
	v_lshlrev_b32_e32 v6, 1, v6
	v_lshl_add_u32 v2, v2, 1, v7
	s_delay_alu instid0(VALU_DEP_3) | instskip(NEXT) | instid1(VALU_DEP_3)
	v_lshl_add_u32 v3, v3, 1, v5
	v_lshl_add_u32 v4, v4, 1, v6
	s_cbranch_scc0 .LBB9_2
; %bb.19:
                                        ; implicit-def: $vgpr5
                                        ; implicit-def: $vgpr22
                                        ; implicit-def: $sgpr19
.LBB9_20:
	s_mov_b32 s13, 0
	s_barrier
	buffer_gl0_inv
	ds_store_b16 v2, v1
	ds_store_b16 v3, v23
	;; [unrolled: 1-line block ×3, first 2 shown]
	s_waitcnt lgkmcnt(0)
	s_barrier
.LBB9_21:
	s_and_b32 vcc_lo, exec_lo, s13
	s_cbranch_vccz .LBB9_83
; %bb.22:
	s_and_saveexec_b32 s12, s11
	s_cbranch_execz .LBB9_31
; %bb.23:
	v_mov_b32_e32 v2, 0
	v_sub_nc_u32_e32 v1, v11, v19
	v_cmp_gt_u32_e32 vcc_lo, 0x2bc, v0
	ds_store_b32 v1, v2
	s_and_b32 exec_lo, exec_lo, vcc_lo
	s_cbranch_execz .LBB9_31
; %bb.24:
	v_sub_nc_u32_e32 v1, 0, v19
	v_cmp_gt_u32_e32 vcc_lo, 0x258, v0
	s_delay_alu instid0(VALU_DEP_2)
	v_add_nc_u32_e32 v1, v11, v1
	ds_store_b32 v1, v2 offset:400
	s_and_b32 exec_lo, exec_lo, vcc_lo
	s_cbranch_execz .LBB9_31
; %bb.25:
	v_mov_b32_e32 v2, 0
	v_cmp_gt_u32_e32 vcc_lo, 0x1f4, v0
	ds_store_b32 v1, v2 offset:800
	s_and_b32 exec_lo, exec_lo, vcc_lo
	s_cbranch_execz .LBB9_31
; %bb.26:
	v_cmp_gt_u32_e32 vcc_lo, 0x190, v0
	ds_store_b32 v1, v2 offset:1200
	s_and_b32 exec_lo, exec_lo, vcc_lo
	s_cbranch_execz .LBB9_31
; %bb.27:
	v_mov_b32_e32 v2, 0
	v_cmp_gt_u32_e32 vcc_lo, 0x12c, v0
	ds_store_b32 v1, v2 offset:1600
	s_and_b32 exec_lo, exec_lo, vcc_lo
	s_cbranch_execz .LBB9_31
; %bb.28:
	v_cmp_gt_u32_e32 vcc_lo, 0xc8, v0
	ds_store_b32 v1, v2 offset:2000
	s_and_b32 exec_lo, exec_lo, vcc_lo
	s_cbranch_execz .LBB9_31
; %bb.29:
	v_mov_b32_e32 v2, 0
	v_cmp_gt_u32_e32 vcc_lo, 0x64, v0
	ds_store_b32 v1, v2 offset:2400
	s_and_b32 exec_lo, exec_lo, vcc_lo
	s_cbranch_execz .LBB9_31
; %bb.30:
	ds_store_b32 v1, v2 offset:2800
.LBB9_31:
	s_or_b32 exec_lo, exec_lo, s12
	s_waitcnt vmcnt(1)
	v_and_b32_e32 v1, 7, v18
	v_lshrrev_b32_e32 v2, 2, v18
	s_delay_alu instid0(VALU_DEP_2) | instskip(NEXT) | instid1(VALU_DEP_2)
	v_mad_u32_u24 v1, 0x64, v1, v0
	v_and_b32_e32 v2, 2, v2
	s_delay_alu instid0(VALU_DEP_1)
	v_lshl_or_b32 v20, v1, 2, v2
	v_bfe_u32 v1, v18, 16, 3
	v_lshrrev_b32_e32 v2, 18, v18
	ds_load_u16 v19, v20
	v_mad_u32_u24 v1, 0x64, v1, v0
	v_and_b32_e32 v2, 2, v2
	s_delay_alu instid0(VALU_DEP_1) | instskip(SKIP_2) | instid1(VALU_DEP_1)
	v_lshl_or_b32 v22, v1, 2, v2
	s_waitcnt vmcnt(0)
	v_and_b32_e32 v1, 0xffff, v17
	v_and_b32_e32 v2, 7, v1
	v_lshrrev_b32_e32 v1, 2, v1
	s_delay_alu instid0(VALU_DEP_2) | instskip(NEXT) | instid1(VALU_DEP_2)
	v_mad_u32_u24 v2, 0x64, v2, v0
	v_and_b32_e32 v1, 2, v1
	s_waitcnt lgkmcnt(0)
	v_add_nc_u16 v3, v19, 1
	s_delay_alu instid0(VALU_DEP_2)
	v_lshl_or_b32 v24, v2, 2, v1
	ds_store_b16 v20, v3
	ds_load_u16 v21, v22
	s_waitcnt lgkmcnt(0)
	v_add_nc_u16 v3, v21, 1
	ds_store_b16 v22, v3
	ds_load_u16 v23, v24
	s_waitcnt lgkmcnt(0)
	v_add_nc_u16 v1, v23, 1
	ds_store_b16 v24, v1
	s_waitcnt lgkmcnt(0)
	s_barrier
	buffer_gl0_inv
	ds_load_2addr_b64 v[5:8], v12 offset1:1
	ds_load_2addr_b64 v[1:4], v12 offset0:2 offset1:3
	s_waitcnt lgkmcnt(1)
	v_add_nc_u32_e32 v25, v6, v5
	s_delay_alu instid0(VALU_DEP_1) | instskip(SKIP_1) | instid1(VALU_DEP_1)
	v_add3_u32 v25, v25, v7, v8
	s_waitcnt lgkmcnt(0)
	v_add3_u32 v25, v25, v1, v2
	s_delay_alu instid0(VALU_DEP_1) | instskip(NEXT) | instid1(VALU_DEP_1)
	v_add3_u32 v4, v25, v3, v4
	v_mov_b32_dpp v25, v4 row_shr:1 row_mask:0xf bank_mask:0xf
	s_delay_alu instid0(VALU_DEP_1) | instskip(NEXT) | instid1(VALU_DEP_1)
	v_cndmask_b32_e64 v25, v25, 0, s6
	v_add_nc_u32_e32 v4, v25, v4
	s_delay_alu instid0(VALU_DEP_1) | instskip(NEXT) | instid1(VALU_DEP_1)
	v_mov_b32_dpp v25, v4 row_shr:2 row_mask:0xf bank_mask:0xf
	v_cndmask_b32_e64 v25, 0, v25, s5
	s_delay_alu instid0(VALU_DEP_1) | instskip(NEXT) | instid1(VALU_DEP_1)
	v_add_nc_u32_e32 v4, v4, v25
	v_mov_b32_dpp v25, v4 row_shr:4 row_mask:0xf bank_mask:0xf
	s_delay_alu instid0(VALU_DEP_1) | instskip(NEXT) | instid1(VALU_DEP_1)
	v_cndmask_b32_e64 v25, 0, v25, s8
	v_add_nc_u32_e32 v4, v4, v25
	s_delay_alu instid0(VALU_DEP_1) | instskip(NEXT) | instid1(VALU_DEP_1)
	v_mov_b32_dpp v25, v4 row_shr:8 row_mask:0xf bank_mask:0xf
	v_cndmask_b32_e64 v25, 0, v25, s9
	s_delay_alu instid0(VALU_DEP_1) | instskip(SKIP_3) | instid1(VALU_DEP_1)
	v_add_nc_u32_e32 v4, v4, v25
	ds_swizzle_b32 v25, v4 offset:swizzle(BROADCAST,32,15)
	s_waitcnt lgkmcnt(0)
	v_cndmask_b32_e64 v25, v25, 0, s10
	v_add_nc_u32_e32 v25, v4, v25
	s_and_saveexec_b32 s12, s7
	s_cbranch_execz .LBB9_33
; %bb.32:
	ds_store_b32 v14, v25 offset:3200
.LBB9_33:
	s_or_b32 exec_lo, exec_lo, s12
	s_waitcnt lgkmcnt(0)
	s_barrier
	buffer_gl0_inv
	s_and_saveexec_b32 s12, s2
	s_cbranch_execz .LBB9_35
; %bb.34:
	ds_load_b32 v4, v15 offset:3200
	s_waitcnt lgkmcnt(0)
	v_mov_b32_dpp v26, v4 row_shr:1 row_mask:0xf bank_mask:0xf
	s_delay_alu instid0(VALU_DEP_1) | instskip(NEXT) | instid1(VALU_DEP_1)
	v_cndmask_b32_e64 v26, v26, 0, s4
	v_add_nc_u32_e32 v4, v26, v4
	s_delay_alu instid0(VALU_DEP_1) | instskip(NEXT) | instid1(VALU_DEP_1)
	v_mov_b32_dpp v26, v4 row_shr:2 row_mask:0xf bank_mask:0xf
	v_cndmask_b32_e64 v26, 0, v26, s3
	s_delay_alu instid0(VALU_DEP_1)
	v_add_nc_u32_e32 v4, v4, v26
	ds_store_b32 v15, v4 offset:3200
.LBB9_35:
	s_or_b32 exec_lo, exec_lo, s12
	v_lshrrev_b32_e32 v4, 16, v18
	v_dual_mov_b32 v26, 0 :: v_dual_mov_b32 v27, 0
	s_waitcnt lgkmcnt(0)
	s_barrier
	buffer_gl0_inv
	s_and_saveexec_b32 s12, s1
	s_cbranch_execz .LBB9_37
; %bb.36:
	ds_load_b32 v27, v14 offset:3196
.LBB9_37:
	s_or_b32 exec_lo, exec_lo, s12
	s_waitcnt lgkmcnt(0)
	v_add_nc_u32_e32 v25, v27, v25
	ds_load_b32 v26, v26 offset:3212
	ds_bpermute_b32 v25, v13, v25
	s_waitcnt lgkmcnt(0)
	v_cndmask_b32_e64 v25, v25, v27, s0
	s_delay_alu instid0(VALU_DEP_1) | instskip(NEXT) | instid1(VALU_DEP_1)
	v_lshl_add_u32 v25, v26, 16, v25
	v_add_nc_u32_e32 v26, v25, v5
	s_delay_alu instid0(VALU_DEP_1) | instskip(NEXT) | instid1(VALU_DEP_1)
	v_add_nc_u32_e32 v5, v26, v6
	v_add_nc_u32_e32 v6, v5, v7
	s_delay_alu instid0(VALU_DEP_1) | instskip(NEXT) | instid1(VALU_DEP_1)
	v_add_nc_u32_e32 v7, v6, v8
	;; [unrolled: 3-line block ×3, first 2 shown]
	v_add_nc_u32_e32 v2, v1, v3
	ds_store_2addr_b64 v12, v[25:26], v[5:6] offset1:1
	ds_store_2addr_b64 v12, v[7:8], v[1:2] offset0:2 offset1:3
	s_waitcnt lgkmcnt(0)
	s_barrier
	buffer_gl0_inv
	ds_load_u16 v1, v20
	ds_load_u16 v2, v22
	;; [unrolled: 1-line block ×3, first 2 shown]
	v_and_b32_e32 v5, 0xffff, v19
	v_and_b32_e32 v6, 0xffff, v21
	v_and_b32_e32 v7, 0xffff, v23
	s_waitcnt lgkmcnt(0)
	s_barrier
	v_lshlrev_b32_e32 v5, 1, v5
	v_lshlrev_b32_e32 v6, 1, v6
	v_lshlrev_b32_e32 v7, 1, v7
	buffer_gl0_inv
	v_lshl_add_u32 v1, v1, 1, v5
	v_lshl_add_u32 v2, v2, 1, v6
	;; [unrolled: 1-line block ×3, first 2 shown]
	ds_store_b16 v1, v18
	ds_store_b16 v2, v4
	;; [unrolled: 1-line block ×3, first 2 shown]
	s_waitcnt lgkmcnt(0)
	s_barrier
	buffer_gl0_inv
	ds_load_u16 v17, v11
	ds_load_u16 v18, v11 offset:2
	ds_load_u16 v19, v11 offset:4
	s_waitcnt lgkmcnt(0)
	s_barrier
	buffer_gl0_inv
	s_and_saveexec_b32 s12, s11
	s_cbranch_execz .LBB9_46
; %bb.38:
	v_mov_b32_e32 v1, 0
	v_cmp_gt_u32_e32 vcc_lo, 0x2bc, v0
	ds_store_b32 v16, v1
	s_and_b32 exec_lo, exec_lo, vcc_lo
	s_cbranch_execz .LBB9_46
; %bb.39:
	v_cmp_gt_u32_e32 vcc_lo, 0x258, v0
	ds_store_b32 v16, v1 offset:400
	s_and_b32 exec_lo, exec_lo, vcc_lo
	s_cbranch_execz .LBB9_46
; %bb.40:
	v_mov_b32_e32 v1, 0
	v_cmp_gt_u32_e32 vcc_lo, 0x1f4, v0
	ds_store_b32 v16, v1 offset:800
	s_and_b32 exec_lo, exec_lo, vcc_lo
	s_cbranch_execz .LBB9_46
; %bb.41:
	v_cmp_gt_u32_e32 vcc_lo, 0x190, v0
	ds_store_b32 v16, v1 offset:1200
	s_and_b32 exec_lo, exec_lo, vcc_lo
	s_cbranch_execz .LBB9_46
; %bb.42:
	v_mov_b32_e32 v1, 0
	v_cmp_gt_u32_e32 vcc_lo, 0x12c, v0
	ds_store_b32 v16, v1 offset:1600
	;; [unrolled: 11-line block ×3, first 2 shown]
	s_and_b32 exec_lo, exec_lo, vcc_lo
	s_cbranch_execz .LBB9_46
; %bb.45:
	ds_store_b32 v16, v1 offset:2800
.LBB9_46:
	s_or_b32 exec_lo, exec_lo, s12
	v_lshrrev_b16 v1, 4, v17
	s_delay_alu instid0(VALU_DEP_1) | instskip(NEXT) | instid1(VALU_DEP_1)
	v_and_b32_e32 v1, 0xffff, v1
	v_and_b32_e32 v2, 7, v1
	v_lshrrev_b32_e32 v1, 2, v1
	s_delay_alu instid0(VALU_DEP_2) | instskip(NEXT) | instid1(VALU_DEP_2)
	v_mad_u32_u24 v2, 0x64, v2, v0
	v_and_b32_e32 v1, 2, v1
	s_delay_alu instid0(VALU_DEP_1) | instskip(SKIP_3) | instid1(VALU_DEP_1)
	v_lshl_or_b32 v20, v2, 2, v1
	v_lshrrev_b16 v1, 4, v18
	ds_load_u16 v21, v20
	v_and_b32_e32 v1, 0xffff, v1
	v_and_b32_e32 v2, 7, v1
	v_lshrrev_b32_e32 v1, 2, v1
	s_delay_alu instid0(VALU_DEP_2) | instskip(NEXT) | instid1(VALU_DEP_2)
	v_mad_u32_u24 v2, 0x64, v2, v0
	v_and_b32_e32 v1, 2, v1
	s_delay_alu instid0(VALU_DEP_1) | instskip(SKIP_3) | instid1(VALU_DEP_2)
	v_lshl_or_b32 v22, v2, 2, v1
	v_lshrrev_b16 v1, 4, v19
	s_waitcnt lgkmcnt(0)
	v_add_nc_u16 v3, v21, 1
	v_and_b32_e32 v1, 0xffff, v1
	ds_store_b16 v20, v3
	ds_load_u16 v23, v22
	v_and_b32_e32 v2, 7, v1
	v_lshrrev_b32_e32 v1, 2, v1
	s_delay_alu instid0(VALU_DEP_2) | instskip(NEXT) | instid1(VALU_DEP_2)
	v_mad_u32_u24 v2, 0x64, v2, v0
	v_and_b32_e32 v1, 2, v1
	s_delay_alu instid0(VALU_DEP_1)
	v_lshl_or_b32 v25, v2, 2, v1
	s_waitcnt lgkmcnt(0)
	v_add_nc_u16 v3, v23, 1
	ds_store_b16 v22, v3
	ds_load_u16 v24, v25
	s_waitcnt lgkmcnt(0)
	v_add_nc_u16 v1, v24, 1
	ds_store_b16 v25, v1
	s_waitcnt lgkmcnt(0)
	s_barrier
	buffer_gl0_inv
	ds_load_2addr_b64 v[5:8], v12 offset1:1
	ds_load_2addr_b64 v[1:4], v12 offset0:2 offset1:3
	s_waitcnt lgkmcnt(1)
	v_add_nc_u32_e32 v26, v6, v5
	s_delay_alu instid0(VALU_DEP_1) | instskip(SKIP_1) | instid1(VALU_DEP_1)
	v_add3_u32 v26, v26, v7, v8
	s_waitcnt lgkmcnt(0)
	v_add3_u32 v26, v26, v1, v2
	s_delay_alu instid0(VALU_DEP_1) | instskip(NEXT) | instid1(VALU_DEP_1)
	v_add3_u32 v4, v26, v3, v4
	v_mov_b32_dpp v26, v4 row_shr:1 row_mask:0xf bank_mask:0xf
	s_delay_alu instid0(VALU_DEP_1) | instskip(NEXT) | instid1(VALU_DEP_1)
	v_cndmask_b32_e64 v26, v26, 0, s6
	v_add_nc_u32_e32 v4, v26, v4
	s_delay_alu instid0(VALU_DEP_1) | instskip(NEXT) | instid1(VALU_DEP_1)
	v_mov_b32_dpp v26, v4 row_shr:2 row_mask:0xf bank_mask:0xf
	v_cndmask_b32_e64 v26, 0, v26, s5
	s_delay_alu instid0(VALU_DEP_1) | instskip(NEXT) | instid1(VALU_DEP_1)
	v_add_nc_u32_e32 v4, v4, v26
	v_mov_b32_dpp v26, v4 row_shr:4 row_mask:0xf bank_mask:0xf
	s_delay_alu instid0(VALU_DEP_1) | instskip(NEXT) | instid1(VALU_DEP_1)
	v_cndmask_b32_e64 v26, 0, v26, s8
	v_add_nc_u32_e32 v4, v4, v26
	s_delay_alu instid0(VALU_DEP_1) | instskip(NEXT) | instid1(VALU_DEP_1)
	v_mov_b32_dpp v26, v4 row_shr:8 row_mask:0xf bank_mask:0xf
	v_cndmask_b32_e64 v26, 0, v26, s9
	s_delay_alu instid0(VALU_DEP_1) | instskip(SKIP_3) | instid1(VALU_DEP_1)
	v_add_nc_u32_e32 v4, v4, v26
	ds_swizzle_b32 v26, v4 offset:swizzle(BROADCAST,32,15)
	s_waitcnt lgkmcnt(0)
	v_cndmask_b32_e64 v26, v26, 0, s10
	v_add_nc_u32_e32 v4, v4, v26
	s_and_saveexec_b32 s12, s7
	s_cbranch_execz .LBB9_48
; %bb.47:
	ds_store_b32 v14, v4 offset:3200
.LBB9_48:
	s_or_b32 exec_lo, exec_lo, s12
	s_waitcnt lgkmcnt(0)
	s_barrier
	buffer_gl0_inv
	s_and_saveexec_b32 s12, s2
	s_cbranch_execz .LBB9_50
; %bb.49:
	ds_load_b32 v26, v15 offset:3200
	s_waitcnt lgkmcnt(0)
	v_mov_b32_dpp v27, v26 row_shr:1 row_mask:0xf bank_mask:0xf
	s_delay_alu instid0(VALU_DEP_1) | instskip(NEXT) | instid1(VALU_DEP_1)
	v_cndmask_b32_e64 v27, v27, 0, s4
	v_add_nc_u32_e32 v26, v27, v26
	s_delay_alu instid0(VALU_DEP_1) | instskip(NEXT) | instid1(VALU_DEP_1)
	v_mov_b32_dpp v27, v26 row_shr:2 row_mask:0xf bank_mask:0xf
	v_cndmask_b32_e64 v27, 0, v27, s3
	s_delay_alu instid0(VALU_DEP_1)
	v_add_nc_u32_e32 v26, v26, v27
	ds_store_b32 v15, v26 offset:3200
.LBB9_50:
	s_or_b32 exec_lo, exec_lo, s12
	v_dual_mov_b32 v26, 0 :: v_dual_mov_b32 v27, 0
	s_waitcnt lgkmcnt(0)
	s_barrier
	buffer_gl0_inv
	s_and_saveexec_b32 s12, s1
	s_cbranch_execz .LBB9_52
; %bb.51:
	ds_load_b32 v27, v14 offset:3196
.LBB9_52:
	s_or_b32 exec_lo, exec_lo, s12
	s_waitcnt lgkmcnt(0)
	v_add_nc_u32_e32 v4, v27, v4
	ds_load_b32 v26, v26 offset:3212
	ds_bpermute_b32 v4, v13, v4
	s_waitcnt lgkmcnt(0)
	v_cndmask_b32_e64 v4, v4, v27, s0
	s_delay_alu instid0(VALU_DEP_1) | instskip(NEXT) | instid1(VALU_DEP_1)
	v_lshl_add_u32 v4, v26, 16, v4
	v_add_nc_u32_e32 v5, v4, v5
	s_delay_alu instid0(VALU_DEP_1) | instskip(NEXT) | instid1(VALU_DEP_1)
	v_add_nc_u32_e32 v6, v5, v6
	v_add_nc_u32_e32 v7, v6, v7
	s_delay_alu instid0(VALU_DEP_1) | instskip(NEXT) | instid1(VALU_DEP_1)
	v_add_nc_u32_e32 v26, v7, v8
	v_add_nc_u32_e32 v27, v26, v1
	s_delay_alu instid0(VALU_DEP_1) | instskip(NEXT) | instid1(VALU_DEP_1)
	v_add_nc_u32_e32 v1, v27, v2
	v_add_nc_u32_e32 v2, v1, v3
	ds_store_2addr_b64 v12, v[4:5], v[6:7] offset1:1
	ds_store_2addr_b64 v12, v[26:27], v[1:2] offset0:2 offset1:3
	s_waitcnt lgkmcnt(0)
	s_barrier
	buffer_gl0_inv
	ds_load_u16 v1, v20
	ds_load_u16 v2, v22
	;; [unrolled: 1-line block ×3, first 2 shown]
	v_and_b32_e32 v4, 0xffff, v21
	v_and_b32_e32 v5, 0xffff, v23
	;; [unrolled: 1-line block ×3, first 2 shown]
	s_waitcnt lgkmcnt(0)
	s_barrier
	v_lshlrev_b32_e32 v4, 1, v4
	v_lshlrev_b32_e32 v5, 1, v5
	;; [unrolled: 1-line block ×3, first 2 shown]
	buffer_gl0_inv
	v_lshl_add_u32 v1, v1, 1, v4
	v_lshl_add_u32 v2, v2, 1, v5
	;; [unrolled: 1-line block ×3, first 2 shown]
	ds_store_b16 v1, v17
	ds_store_b16 v2, v18
	;; [unrolled: 1-line block ×3, first 2 shown]
	s_waitcnt lgkmcnt(0)
	s_barrier
	buffer_gl0_inv
	ds_load_u16 v17, v11
	ds_load_u16 v18, v11 offset:2
	ds_load_u16 v19, v11 offset:4
	s_waitcnt lgkmcnt(0)
	s_barrier
	buffer_gl0_inv
	s_and_saveexec_b32 s12, s11
	s_cbranch_execz .LBB9_61
; %bb.53:
	v_mov_b32_e32 v1, 0
	v_cmp_gt_u32_e32 vcc_lo, 0x2bc, v0
	ds_store_b32 v16, v1
	s_and_b32 exec_lo, exec_lo, vcc_lo
	s_cbranch_execz .LBB9_61
; %bb.54:
	v_cmp_gt_u32_e32 vcc_lo, 0x258, v0
	ds_store_b32 v16, v1 offset:400
	s_and_b32 exec_lo, exec_lo, vcc_lo
	s_cbranch_execz .LBB9_61
; %bb.55:
	v_mov_b32_e32 v1, 0
	v_cmp_gt_u32_e32 vcc_lo, 0x1f4, v0
	ds_store_b32 v16, v1 offset:800
	s_and_b32 exec_lo, exec_lo, vcc_lo
	s_cbranch_execz .LBB9_61
; %bb.56:
	v_cmp_gt_u32_e32 vcc_lo, 0x190, v0
	ds_store_b32 v16, v1 offset:1200
	s_and_b32 exec_lo, exec_lo, vcc_lo
	s_cbranch_execz .LBB9_61
; %bb.57:
	v_mov_b32_e32 v1, 0
	v_cmp_gt_u32_e32 vcc_lo, 0x12c, v0
	ds_store_b32 v16, v1 offset:1600
	;; [unrolled: 11-line block ×3, first 2 shown]
	s_and_b32 exec_lo, exec_lo, vcc_lo
	s_cbranch_execz .LBB9_61
; %bb.60:
	ds_store_b32 v16, v1 offset:2800
.LBB9_61:
	s_or_b32 exec_lo, exec_lo, s12
	v_lshrrev_b16 v1, 8, v17
	s_delay_alu instid0(VALU_DEP_1) | instskip(NEXT) | instid1(VALU_DEP_1)
	v_and_b32_e32 v1, 0xffff, v1
	v_and_b32_e32 v2, 7, v1
	v_lshrrev_b32_e32 v1, 2, v1
	s_delay_alu instid0(VALU_DEP_2) | instskip(NEXT) | instid1(VALU_DEP_2)
	v_mad_u32_u24 v2, 0x64, v2, v0
	v_and_b32_e32 v1, 2, v1
	s_delay_alu instid0(VALU_DEP_1) | instskip(SKIP_3) | instid1(VALU_DEP_1)
	v_lshl_or_b32 v20, v2, 2, v1
	v_lshrrev_b16 v1, 8, v18
	ds_load_u16 v21, v20
	v_and_b32_e32 v1, 0xffff, v1
	v_and_b32_e32 v2, 7, v1
	v_lshrrev_b32_e32 v1, 2, v1
	s_delay_alu instid0(VALU_DEP_2) | instskip(NEXT) | instid1(VALU_DEP_2)
	v_mad_u32_u24 v2, 0x64, v2, v0
	v_and_b32_e32 v1, 2, v1
	s_delay_alu instid0(VALU_DEP_1) | instskip(SKIP_3) | instid1(VALU_DEP_2)
	v_lshl_or_b32 v22, v2, 2, v1
	v_lshrrev_b16 v1, 8, v19
	s_waitcnt lgkmcnt(0)
	v_add_nc_u16 v3, v21, 1
	v_and_b32_e32 v1, 0xffff, v1
	ds_store_b16 v20, v3
	ds_load_u16 v23, v22
	v_and_b32_e32 v2, 7, v1
	v_lshrrev_b32_e32 v1, 2, v1
	s_delay_alu instid0(VALU_DEP_2) | instskip(NEXT) | instid1(VALU_DEP_2)
	v_mad_u32_u24 v2, 0x64, v2, v0
	v_and_b32_e32 v1, 2, v1
	s_delay_alu instid0(VALU_DEP_1)
	v_lshl_or_b32 v25, v2, 2, v1
	s_waitcnt lgkmcnt(0)
	v_add_nc_u16 v3, v23, 1
	ds_store_b16 v22, v3
	ds_load_u16 v24, v25
	s_waitcnt lgkmcnt(0)
	v_add_nc_u16 v1, v24, 1
	ds_store_b16 v25, v1
	s_waitcnt lgkmcnt(0)
	s_barrier
	buffer_gl0_inv
	ds_load_2addr_b64 v[5:8], v12 offset1:1
	ds_load_2addr_b64 v[1:4], v12 offset0:2 offset1:3
	s_waitcnt lgkmcnt(1)
	v_add_nc_u32_e32 v26, v6, v5
	s_delay_alu instid0(VALU_DEP_1) | instskip(SKIP_1) | instid1(VALU_DEP_1)
	v_add3_u32 v26, v26, v7, v8
	s_waitcnt lgkmcnt(0)
	v_add3_u32 v26, v26, v1, v2
	s_delay_alu instid0(VALU_DEP_1) | instskip(NEXT) | instid1(VALU_DEP_1)
	v_add3_u32 v4, v26, v3, v4
	v_mov_b32_dpp v26, v4 row_shr:1 row_mask:0xf bank_mask:0xf
	s_delay_alu instid0(VALU_DEP_1) | instskip(NEXT) | instid1(VALU_DEP_1)
	v_cndmask_b32_e64 v26, v26, 0, s6
	v_add_nc_u32_e32 v4, v26, v4
	s_delay_alu instid0(VALU_DEP_1) | instskip(NEXT) | instid1(VALU_DEP_1)
	v_mov_b32_dpp v26, v4 row_shr:2 row_mask:0xf bank_mask:0xf
	v_cndmask_b32_e64 v26, 0, v26, s5
	s_delay_alu instid0(VALU_DEP_1) | instskip(NEXT) | instid1(VALU_DEP_1)
	v_add_nc_u32_e32 v4, v4, v26
	v_mov_b32_dpp v26, v4 row_shr:4 row_mask:0xf bank_mask:0xf
	s_delay_alu instid0(VALU_DEP_1) | instskip(NEXT) | instid1(VALU_DEP_1)
	v_cndmask_b32_e64 v26, 0, v26, s8
	v_add_nc_u32_e32 v4, v4, v26
	s_delay_alu instid0(VALU_DEP_1) | instskip(NEXT) | instid1(VALU_DEP_1)
	v_mov_b32_dpp v26, v4 row_shr:8 row_mask:0xf bank_mask:0xf
	v_cndmask_b32_e64 v26, 0, v26, s9
	s_delay_alu instid0(VALU_DEP_1) | instskip(SKIP_3) | instid1(VALU_DEP_1)
	v_add_nc_u32_e32 v4, v4, v26
	ds_swizzle_b32 v26, v4 offset:swizzle(BROADCAST,32,15)
	s_waitcnt lgkmcnt(0)
	v_cndmask_b32_e64 v26, v26, 0, s10
	v_add_nc_u32_e32 v4, v4, v26
	s_and_saveexec_b32 s12, s7
	s_cbranch_execz .LBB9_63
; %bb.62:
	ds_store_b32 v14, v4 offset:3200
.LBB9_63:
	s_or_b32 exec_lo, exec_lo, s12
	s_waitcnt lgkmcnt(0)
	s_barrier
	buffer_gl0_inv
	s_and_saveexec_b32 s12, s2
	s_cbranch_execz .LBB9_65
; %bb.64:
	ds_load_b32 v26, v15 offset:3200
	s_waitcnt lgkmcnt(0)
	v_mov_b32_dpp v27, v26 row_shr:1 row_mask:0xf bank_mask:0xf
	s_delay_alu instid0(VALU_DEP_1) | instskip(NEXT) | instid1(VALU_DEP_1)
	v_cndmask_b32_e64 v27, v27, 0, s4
	v_add_nc_u32_e32 v26, v27, v26
	s_delay_alu instid0(VALU_DEP_1) | instskip(NEXT) | instid1(VALU_DEP_1)
	v_mov_b32_dpp v27, v26 row_shr:2 row_mask:0xf bank_mask:0xf
	v_cndmask_b32_e64 v27, 0, v27, s3
	s_delay_alu instid0(VALU_DEP_1)
	v_add_nc_u32_e32 v26, v26, v27
	ds_store_b32 v15, v26 offset:3200
.LBB9_65:
	s_or_b32 exec_lo, exec_lo, s12
	v_dual_mov_b32 v26, 0 :: v_dual_mov_b32 v27, 0
	s_waitcnt lgkmcnt(0)
	s_barrier
	buffer_gl0_inv
	s_and_saveexec_b32 s12, s1
	s_cbranch_execz .LBB9_67
; %bb.66:
	ds_load_b32 v27, v14 offset:3196
.LBB9_67:
	s_or_b32 exec_lo, exec_lo, s12
	s_waitcnt lgkmcnt(0)
	v_add_nc_u32_e32 v4, v27, v4
	ds_load_b32 v26, v26 offset:3212
	ds_bpermute_b32 v4, v13, v4
	s_waitcnt lgkmcnt(0)
	v_cndmask_b32_e64 v4, v4, v27, s0
	s_delay_alu instid0(VALU_DEP_1) | instskip(NEXT) | instid1(VALU_DEP_1)
	v_lshl_add_u32 v4, v26, 16, v4
	v_add_nc_u32_e32 v5, v4, v5
	s_delay_alu instid0(VALU_DEP_1) | instskip(NEXT) | instid1(VALU_DEP_1)
	v_add_nc_u32_e32 v6, v5, v6
	v_add_nc_u32_e32 v7, v6, v7
	s_delay_alu instid0(VALU_DEP_1) | instskip(NEXT) | instid1(VALU_DEP_1)
	v_add_nc_u32_e32 v26, v7, v8
	;; [unrolled: 3-line block ×3, first 2 shown]
	v_add_nc_u32_e32 v2, v1, v3
	ds_store_2addr_b64 v12, v[4:5], v[6:7] offset1:1
	ds_store_2addr_b64 v12, v[26:27], v[1:2] offset0:2 offset1:3
	s_waitcnt lgkmcnt(0)
	s_barrier
	buffer_gl0_inv
	ds_load_u16 v1, v20
	ds_load_u16 v2, v22
	;; [unrolled: 1-line block ×3, first 2 shown]
	v_and_b32_e32 v4, 0xffff, v21
	v_and_b32_e32 v5, 0xffff, v23
	v_and_b32_e32 v6, 0xffff, v24
	s_waitcnt lgkmcnt(0)
	s_barrier
	v_lshlrev_b32_e32 v4, 1, v4
	v_lshlrev_b32_e32 v5, 1, v5
	;; [unrolled: 1-line block ×3, first 2 shown]
	buffer_gl0_inv
	v_lshl_add_u32 v1, v1, 1, v4
	v_lshl_add_u32 v2, v2, 1, v5
	;; [unrolled: 1-line block ×3, first 2 shown]
	ds_store_b16 v1, v17
	ds_store_b16 v2, v18
	;; [unrolled: 1-line block ×3, first 2 shown]
	s_waitcnt lgkmcnt(0)
	s_barrier
	buffer_gl0_inv
	ds_load_u16 v8, v11
	ds_load_u16 v17, v11 offset:2
	ds_load_u16 v18, v11 offset:4
	s_waitcnt lgkmcnt(0)
	s_barrier
	buffer_gl0_inv
	s_and_saveexec_b32 s12, s11
	s_cbranch_execz .LBB9_76
; %bb.68:
	v_mov_b32_e32 v1, 0
	v_cmp_gt_u32_e32 vcc_lo, 0x2bc, v0
	ds_store_b32 v16, v1
	s_and_b32 exec_lo, exec_lo, vcc_lo
	s_cbranch_execz .LBB9_76
; %bb.69:
	v_cmp_gt_u32_e32 vcc_lo, 0x258, v0
	ds_store_b32 v16, v1 offset:400
	s_and_b32 exec_lo, exec_lo, vcc_lo
	s_cbranch_execz .LBB9_76
; %bb.70:
	v_mov_b32_e32 v1, 0
	v_cmp_gt_u32_e32 vcc_lo, 0x1f4, v0
	ds_store_b32 v16, v1 offset:800
	s_and_b32 exec_lo, exec_lo, vcc_lo
	s_cbranch_execz .LBB9_76
; %bb.71:
	v_cmp_gt_u32_e32 vcc_lo, 0x190, v0
	ds_store_b32 v16, v1 offset:1200
	s_and_b32 exec_lo, exec_lo, vcc_lo
	s_cbranch_execz .LBB9_76
; %bb.72:
	v_mov_b32_e32 v1, 0
	v_cmp_gt_u32_e32 vcc_lo, 0x12c, v0
	ds_store_b32 v16, v1 offset:1600
	;; [unrolled: 11-line block ×3, first 2 shown]
	s_and_b32 exec_lo, exec_lo, vcc_lo
	s_cbranch_execz .LBB9_76
; %bb.75:
	ds_store_b32 v16, v1 offset:2800
.LBB9_76:
	s_or_b32 exec_lo, exec_lo, s12
	v_lshrrev_b16 v1, 12, v8
	s_delay_alu instid0(VALU_DEP_1) | instskip(NEXT) | instid1(VALU_DEP_1)
	v_and_b32_e32 v1, 0xffff, v1
	v_and_b32_e32 v2, 7, v1
	v_lshrrev_b32_e32 v1, 2, v1
	s_delay_alu instid0(VALU_DEP_2) | instskip(NEXT) | instid1(VALU_DEP_2)
	v_mad_u32_u24 v2, 0x64, v2, v0
	v_and_b32_e32 v1, 2, v1
	s_delay_alu instid0(VALU_DEP_1) | instskip(SKIP_3) | instid1(VALU_DEP_1)
	v_lshl_or_b32 v16, v2, 2, v1
	v_lshrrev_b16 v1, 12, v17
	ds_load_u16 v19, v16
	v_and_b32_e32 v1, 0xffff, v1
	v_and_b32_e32 v2, 7, v1
	v_lshrrev_b32_e32 v1, 2, v1
	s_delay_alu instid0(VALU_DEP_2) | instskip(NEXT) | instid1(VALU_DEP_2)
	v_mad_u32_u24 v2, 0x64, v2, v0
	v_and_b32_e32 v1, 2, v1
	s_delay_alu instid0(VALU_DEP_1) | instskip(SKIP_3) | instid1(VALU_DEP_2)
	v_lshl_or_b32 v20, v2, 2, v1
	v_lshrrev_b16 v1, 12, v18
	s_waitcnt lgkmcnt(0)
	v_add_nc_u16 v3, v19, 1
	v_and_b32_e32 v1, 0xffff, v1
	ds_store_b16 v16, v3
	ds_load_u16 v21, v20
	v_and_b32_e32 v2, 7, v1
	v_lshrrev_b32_e32 v1, 2, v1
	s_delay_alu instid0(VALU_DEP_2) | instskip(NEXT) | instid1(VALU_DEP_2)
	v_mad_u32_u24 v0, 0x64, v2, v0
	v_and_b32_e32 v1, 2, v1
	s_delay_alu instid0(VALU_DEP_1)
	v_lshl_or_b32 v23, v0, 2, v1
	s_waitcnt lgkmcnt(0)
	v_add_nc_u16 v2, v21, 1
	ds_store_b16 v20, v2
	ds_load_u16 v22, v23
	s_waitcnt lgkmcnt(0)
	v_add_nc_u16 v0, v22, 1
	ds_store_b16 v23, v0
	s_waitcnt lgkmcnt(0)
	s_barrier
	buffer_gl0_inv
	ds_load_2addr_b64 v[4:7], v12 offset1:1
	ds_load_2addr_b64 v[0:3], v12 offset0:2 offset1:3
	s_waitcnt lgkmcnt(1)
	v_add_nc_u32_e32 v24, v5, v4
	s_delay_alu instid0(VALU_DEP_1) | instskip(SKIP_1) | instid1(VALU_DEP_1)
	v_add3_u32 v24, v24, v6, v7
	s_waitcnt lgkmcnt(0)
	v_add3_u32 v24, v24, v0, v1
	s_delay_alu instid0(VALU_DEP_1) | instskip(NEXT) | instid1(VALU_DEP_1)
	v_add3_u32 v3, v24, v2, v3
	v_mov_b32_dpp v24, v3 row_shr:1 row_mask:0xf bank_mask:0xf
	s_delay_alu instid0(VALU_DEP_1) | instskip(NEXT) | instid1(VALU_DEP_1)
	v_cndmask_b32_e64 v24, v24, 0, s6
	v_add_nc_u32_e32 v3, v24, v3
	s_delay_alu instid0(VALU_DEP_1) | instskip(NEXT) | instid1(VALU_DEP_1)
	v_mov_b32_dpp v24, v3 row_shr:2 row_mask:0xf bank_mask:0xf
	v_cndmask_b32_e64 v24, 0, v24, s5
	s_delay_alu instid0(VALU_DEP_1) | instskip(NEXT) | instid1(VALU_DEP_1)
	v_add_nc_u32_e32 v3, v3, v24
	v_mov_b32_dpp v24, v3 row_shr:4 row_mask:0xf bank_mask:0xf
	s_delay_alu instid0(VALU_DEP_1) | instskip(NEXT) | instid1(VALU_DEP_1)
	v_cndmask_b32_e64 v24, 0, v24, s8
	v_add_nc_u32_e32 v3, v3, v24
	s_delay_alu instid0(VALU_DEP_1) | instskip(NEXT) | instid1(VALU_DEP_1)
	v_mov_b32_dpp v24, v3 row_shr:8 row_mask:0xf bank_mask:0xf
	v_cndmask_b32_e64 v24, 0, v24, s9
	s_delay_alu instid0(VALU_DEP_1) | instskip(SKIP_3) | instid1(VALU_DEP_1)
	v_add_nc_u32_e32 v3, v3, v24
	ds_swizzle_b32 v24, v3 offset:swizzle(BROADCAST,32,15)
	s_waitcnt lgkmcnt(0)
	v_cndmask_b32_e64 v24, v24, 0, s10
	v_add_nc_u32_e32 v3, v3, v24
	s_and_saveexec_b32 s5, s7
	s_cbranch_execz .LBB9_78
; %bb.77:
	ds_store_b32 v14, v3 offset:3200
.LBB9_78:
	s_or_b32 exec_lo, exec_lo, s5
	s_waitcnt lgkmcnt(0)
	s_barrier
	buffer_gl0_inv
	s_and_saveexec_b32 s5, s2
	s_cbranch_execz .LBB9_80
; %bb.79:
	ds_load_b32 v24, v15 offset:3200
	s_waitcnt lgkmcnt(0)
	v_mov_b32_dpp v25, v24 row_shr:1 row_mask:0xf bank_mask:0xf
	s_delay_alu instid0(VALU_DEP_1) | instskip(NEXT) | instid1(VALU_DEP_1)
	v_cndmask_b32_e64 v25, v25, 0, s4
	v_add_nc_u32_e32 v24, v25, v24
	s_delay_alu instid0(VALU_DEP_1) | instskip(NEXT) | instid1(VALU_DEP_1)
	v_mov_b32_dpp v25, v24 row_shr:2 row_mask:0xf bank_mask:0xf
	v_cndmask_b32_e64 v25, 0, v25, s3
	s_delay_alu instid0(VALU_DEP_1)
	v_add_nc_u32_e32 v24, v24, v25
	ds_store_b32 v15, v24 offset:3200
.LBB9_80:
	s_or_b32 exec_lo, exec_lo, s5
	v_dual_mov_b32 v15, 0 :: v_dual_mov_b32 v24, 0
	s_waitcnt lgkmcnt(0)
	s_barrier
	buffer_gl0_inv
	s_and_saveexec_b32 s2, s1
	s_cbranch_execz .LBB9_82
; %bb.81:
	ds_load_b32 v24, v14 offset:3196
.LBB9_82:
	s_or_b32 exec_lo, exec_lo, s2
	s_waitcnt lgkmcnt(0)
	v_add_nc_u32_e32 v3, v24, v3
	ds_bpermute_b32 v3, v13, v3
	ds_load_b32 v13, v15 offset:3212
	s_waitcnt lgkmcnt(1)
	v_cndmask_b32_e64 v3, v3, v24, s0
	s_waitcnt lgkmcnt(0)
	s_delay_alu instid0(VALU_DEP_1) | instskip(NEXT) | instid1(VALU_DEP_1)
	v_lshl_add_u32 v3, v13, 16, v3
	v_add_nc_u32_e32 v4, v3, v4
	s_delay_alu instid0(VALU_DEP_1) | instskip(NEXT) | instid1(VALU_DEP_1)
	v_add_nc_u32_e32 v5, v4, v5
	v_add_nc_u32_e32 v6, v5, v6
	s_delay_alu instid0(VALU_DEP_1) | instskip(NEXT) | instid1(VALU_DEP_1)
	v_add_nc_u32_e32 v13, v6, v7
	;; [unrolled: 3-line block ×3, first 2 shown]
	v_add_nc_u32_e32 v1, v0, v2
	ds_store_2addr_b64 v12, v[3:4], v[5:6] offset1:1
	ds_store_2addr_b64 v12, v[13:14], v[0:1] offset0:2 offset1:3
	s_waitcnt lgkmcnt(0)
	s_barrier
	buffer_gl0_inv
	ds_load_u16 v0, v16
	ds_load_u16 v1, v20
	;; [unrolled: 1-line block ×3, first 2 shown]
	v_and_b32_e32 v3, 0xffff, v19
	v_and_b32_e32 v4, 0xffff, v21
	;; [unrolled: 1-line block ×3, first 2 shown]
	s_waitcnt lgkmcnt(0)
	s_barrier
	v_lshlrev_b32_e32 v3, 1, v3
	v_lshlrev_b32_e32 v4, 1, v4
	v_lshlrev_b32_e32 v5, 1, v5
	buffer_gl0_inv
	v_lshl_add_u32 v0, v0, 1, v3
	v_lshl_add_u32 v1, v1, 1, v4
	;; [unrolled: 1-line block ×3, first 2 shown]
	ds_store_b16 v0, v8
	ds_store_b16 v1, v17
	;; [unrolled: 1-line block ×3, first 2 shown]
	s_waitcnt lgkmcnt(0)
	s_barrier
.LBB9_83:
	s_waitcnt vmcnt(0)
	buffer_gl0_inv
	ds_load_u16 v0, v11 offset:4
	ds_load_b32 v1, v11
	s_waitcnt lgkmcnt(1)
	global_store_b16 v[9:10], v0, off offset:4
	s_waitcnt lgkmcnt(0)
	global_store_b32 v[9:10], v1, off
	s_nop 0
	s_sendmsg sendmsg(MSG_DEALLOC_VGPRS)
	s_endpgm
	.section	.rodata,"a",@progbits
	.p2align	6, 0x0
	.amdhsa_kernel _Z15sort_key_kernelILj100ELj3ELb0ELb0EtEvPT3_jj
		.amdhsa_group_segment_fixed_size 3216
		.amdhsa_private_segment_fixed_size 0
		.amdhsa_kernarg_size 16
		.amdhsa_user_sgpr_count 15
		.amdhsa_user_sgpr_dispatch_ptr 0
		.amdhsa_user_sgpr_queue_ptr 0
		.amdhsa_user_sgpr_kernarg_segment_ptr 1
		.amdhsa_user_sgpr_dispatch_id 0
		.amdhsa_user_sgpr_private_segment_size 0
		.amdhsa_wavefront_size32 1
		.amdhsa_uses_dynamic_stack 0
		.amdhsa_enable_private_segment 0
		.amdhsa_system_sgpr_workgroup_id_x 1
		.amdhsa_system_sgpr_workgroup_id_y 0
		.amdhsa_system_sgpr_workgroup_id_z 0
		.amdhsa_system_sgpr_workgroup_info 0
		.amdhsa_system_vgpr_workitem_id 0
		.amdhsa_next_free_vgpr 32
		.amdhsa_next_free_sgpr 24
		.amdhsa_reserve_vcc 1
		.amdhsa_float_round_mode_32 0
		.amdhsa_float_round_mode_16_64 0
		.amdhsa_float_denorm_mode_32 3
		.amdhsa_float_denorm_mode_16_64 3
		.amdhsa_dx10_clamp 1
		.amdhsa_ieee_mode 1
		.amdhsa_fp16_overflow 0
		.amdhsa_workgroup_processor_mode 1
		.amdhsa_memory_ordered 1
		.amdhsa_forward_progress 0
		.amdhsa_shared_vgpr_count 0
		.amdhsa_exception_fp_ieee_invalid_op 0
		.amdhsa_exception_fp_denorm_src 0
		.amdhsa_exception_fp_ieee_div_zero 0
		.amdhsa_exception_fp_ieee_overflow 0
		.amdhsa_exception_fp_ieee_underflow 0
		.amdhsa_exception_fp_ieee_inexact 0
		.amdhsa_exception_int_div_zero 0
	.end_amdhsa_kernel
	.section	.text._Z15sort_key_kernelILj100ELj3ELb0ELb0EtEvPT3_jj,"axG",@progbits,_Z15sort_key_kernelILj100ELj3ELb0ELb0EtEvPT3_jj,comdat
.Lfunc_end9:
	.size	_Z15sort_key_kernelILj100ELj3ELb0ELb0EtEvPT3_jj, .Lfunc_end9-_Z15sort_key_kernelILj100ELj3ELb0ELb0EtEvPT3_jj
                                        ; -- End function
	.section	.AMDGPU.csdata,"",@progbits
; Kernel info:
; codeLenInByte = 6084
; NumSgprs: 26
; NumVgprs: 32
; ScratchSize: 0
; MemoryBound: 0
; FloatMode: 240
; IeeeMode: 1
; LDSByteSize: 3216 bytes/workgroup (compile time only)
; SGPRBlocks: 3
; VGPRBlocks: 3
; NumSGPRsForWavesPerEU: 26
; NumVGPRsForWavesPerEU: 32
; Occupancy: 16
; WaveLimiterHint : 0
; COMPUTE_PGM_RSRC2:SCRATCH_EN: 0
; COMPUTE_PGM_RSRC2:USER_SGPR: 15
; COMPUTE_PGM_RSRC2:TRAP_HANDLER: 0
; COMPUTE_PGM_RSRC2:TGID_X_EN: 1
; COMPUTE_PGM_RSRC2:TGID_Y_EN: 0
; COMPUTE_PGM_RSRC2:TGID_Z_EN: 0
; COMPUTE_PGM_RSRC2:TIDIG_COMP_CNT: 0
	.section	.text._Z15sort_key_kernelILj464ELj2ELb1ELb1EcEvPT3_jj,"axG",@progbits,_Z15sort_key_kernelILj464ELj2ELb1ELb1EcEvPT3_jj,comdat
	.protected	_Z15sort_key_kernelILj464ELj2ELb1ELb1EcEvPT3_jj ; -- Begin function _Z15sort_key_kernelILj464ELj2ELb1ELb1EcEvPT3_jj
	.globl	_Z15sort_key_kernelILj464ELj2ELb1ELb1EcEvPT3_jj
	.p2align	8
	.type	_Z15sort_key_kernelILj464ELj2ELb1ELb1EcEvPT3_jj,@function
_Z15sort_key_kernelILj464ELj2ELb1ELb1EcEvPT3_jj: ; @_Z15sort_key_kernelILj464ELj2ELb1ELb1EcEvPT3_jj
; %bb.0:
	s_load_b128 s[16:19], s[0:1], 0x0
	s_mulk_i32 s15, 0x3a0
	v_lshlrev_b32_e32 v11, 1, v0
	v_mbcnt_lo_u32_b32 v14, -1, 0
	v_lshlrev_b32_e32 v9, 5, v0
	v_and_b32_e32 v16, 0x1e0, v0
	v_cmp_gt_u32_e64 s0, 15, v0
	v_cmp_lt_u32_e64 s1, 31, v0
	v_lshrrev_b32_e32 v15, 3, v0
	v_lshlrev_b32_e32 v10, 2, v0
	s_mov_b32 s4, -1
	s_waitcnt lgkmcnt(0)
	s_add_u32 s12, s16, s15
	s_addc_u32 s13, s17, 0
	s_cmp_lg_u32 s18, 0
	global_load_u16 v1, v11, s[12:13]
	s_cselect_b32 s2, -1, 0
	s_cmp_lg_u32 s19, 8
	s_cselect_b32 s3, -1, 0
	s_delay_alu instid0(SALU_CYCLE_1)
	s_or_b32 s3, s2, s3
	v_cmp_gt_u32_e64 s2, 0x3a0, v0
	s_and_b32 vcc_lo, exec_lo, s3
	v_cmp_gt_u32_e64 s3, 0x1d0, v0
	s_waitcnt vmcnt(0)
	v_lshrrev_b16 v2, 8, v1
	v_xor_b32_e32 v12, 0x7f, v1
	s_delay_alu instid0(VALU_DEP_2)
	v_xor_b32_e32 v13, 0x7f, v2
	s_cbranch_vccz .LBB10_15
; %bb.1:
	s_delay_alu instid0(VALU_DEP_1) | instskip(NEXT) | instid1(VALU_DEP_3)
	v_lshlrev_b16 v1, 8, v13
	v_and_b32_e32 v2, 0xff, v12
	v_min_u32_e32 v5, 0x1b0, v16
	v_dual_mov_b32 v22, 0 :: v_dual_and_b32 v3, 15, v14
	v_and_b32_e32 v4, 16, v14
	s_delay_alu instid0(VALU_DEP_4)
	v_or_b32_e32 v1, v2, v1
	v_add_nc_u32_e32 v2, -1, v14
	v_sub_nc_u32_e32 v18, v10, v11
	v_cmp_eq_u32_e64 s4, 0, v3
	v_cmp_lt_u32_e64 s5, 1, v3
	v_cmp_lt_u32_e64 s6, 3, v3
	v_cmp_gt_i32_e32 vcc_lo, 0, v2
	v_and_b32_e32 v17, 0xffff, v1
	v_add_nc_u32_e32 v1, 31, v5
	v_cmp_lt_u32_e64 s7, 7, v3
	v_cmp_eq_u32_e64 s8, 0, v4
	v_cndmask_b32_e32 v2, v2, v14, vcc_lo
	v_cmp_eq_u32_e64 s10, 0, v14
	v_cmp_eq_u32_e64 s9, v1, v0
	v_and_b32_e32 v20, 60, v15
	v_add_nc_u32_e32 v21, v18, v11
	v_lshlrev_b32_e32 v19, 2, v2
	s_sub_i32 s11, s19, s18
	s_branch .LBB10_3
.LBB10_2:                               ;   in Loop: Header=BB10_3 Depth=1
	s_delay_alu instid0(VALU_DEP_2) | instskip(NEXT) | instid1(VALU_DEP_2)
	v_add_nc_u32_e32 v6, v3, v5
	v_add_nc_u32_e32 v7, v2, v4
	s_barrier
	buffer_gl0_inv
	s_add_i32 s11, s11, -4
	ds_store_b8 v6, v17
	ds_store_b8 v7, v23
	s_waitcnt lgkmcnt(0)
	s_barrier
	buffer_gl0_inv
	ds_load_u16 v17, v18
	s_waitcnt lgkmcnt(0)
	s_barrier
	buffer_gl0_inv
	s_cbranch_execz .LBB10_14
.LBB10_3:                               ; =>This Inner Loop Header: Depth=1
	ds_store_b32 v21, v22
	ds_store_b32 v21, v22 offset:1856
	ds_store_b32 v21, v22 offset:3712
	;; [unrolled: 1-line block ×5, first 2 shown]
	s_and_saveexec_b32 s14, s2
	s_cbranch_execz .LBB10_6
; %bb.4:                                ;   in Loop: Header=BB10_3 Depth=1
	ds_store_b32 v21, v22 offset:11136
	s_and_b32 exec_lo, exec_lo, s3
	s_cbranch_execz .LBB10_6
; %bb.5:                                ;   in Loop: Header=BB10_3 Depth=1
	ds_store_b32 v21, v22 offset:12992
.LBB10_6:                               ;   in Loop: Header=BB10_3 Depth=1
	s_or_b32 exec_lo, exec_lo, s14
	v_and_b32_e32 v1, 0xff, v17
	s_min_u32 s14, s11, 4
	v_lshrrev_b16 v23, 8, v17
	s_lshl_b32 s14, -1, s14
	s_delay_alu instid0(SALU_CYCLE_1) | instskip(SKIP_1) | instid1(VALU_DEP_2)
	s_not_b32 s14, s14
	v_lshrrev_b32_e32 v1, s18, v1
	v_and_b32_e32 v3, 0xffff, v23
	s_delay_alu instid0(VALU_DEP_2) | instskip(NEXT) | instid1(VALU_DEP_1)
	v_and_b32_e32 v1, s14, v1
	v_and_b32_e32 v2, 7, v1
	v_lshrrev_b32_e32 v1, 3, v1
	s_delay_alu instid0(VALU_DEP_2) | instskip(NEXT) | instid1(VALU_DEP_1)
	v_mul_u32_u24_e32 v2, 0x1d0, v2
	v_add_lshl_u32 v2, v2, v0, 1
	s_delay_alu instid0(VALU_DEP_1) | instskip(SKIP_3) | instid1(VALU_DEP_1)
	v_add_lshl_u32 v25, v2, v1, 1
	v_lshrrev_b32_e32 v1, s18, v3
	ds_load_u16 v24, v25
	v_and_b32_e32 v1, s14, v1
	v_and_b32_e32 v2, 7, v1
	v_lshrrev_b32_e32 v1, 3, v1
	s_delay_alu instid0(VALU_DEP_2) | instskip(NEXT) | instid1(VALU_DEP_1)
	v_mul_u32_u24_e32 v2, 0x1d0, v2
	v_add_lshl_u32 v2, v2, v0, 1
	s_waitcnt lgkmcnt(0)
	v_add_nc_u16 v3, v24, 1
	s_delay_alu instid0(VALU_DEP_2)
	v_add_lshl_u32 v27, v2, v1, 1
	ds_store_b16 v25, v3
	ds_load_u16 v26, v27
	s_waitcnt lgkmcnt(0)
	v_add_nc_u16 v1, v26, 1
	ds_store_b16 v27, v1
	s_waitcnt lgkmcnt(0)
	s_barrier
	buffer_gl0_inv
	ds_load_2addr_b64 v[5:8], v9 offset1:1
	ds_load_2addr_b64 v[1:4], v9 offset0:2 offset1:3
	s_waitcnt lgkmcnt(1)
	v_add_nc_u32_e32 v28, v6, v5
	s_delay_alu instid0(VALU_DEP_1) | instskip(SKIP_1) | instid1(VALU_DEP_1)
	v_add3_u32 v28, v28, v7, v8
	s_waitcnt lgkmcnt(0)
	v_add3_u32 v28, v28, v1, v2
	s_delay_alu instid0(VALU_DEP_1) | instskip(NEXT) | instid1(VALU_DEP_1)
	v_add3_u32 v4, v28, v3, v4
	v_mov_b32_dpp v28, v4 row_shr:1 row_mask:0xf bank_mask:0xf
	s_delay_alu instid0(VALU_DEP_1) | instskip(NEXT) | instid1(VALU_DEP_1)
	v_cndmask_b32_e64 v28, v28, 0, s4
	v_add_nc_u32_e32 v4, v28, v4
	s_delay_alu instid0(VALU_DEP_1) | instskip(NEXT) | instid1(VALU_DEP_1)
	v_mov_b32_dpp v28, v4 row_shr:2 row_mask:0xf bank_mask:0xf
	v_cndmask_b32_e64 v28, 0, v28, s5
	s_delay_alu instid0(VALU_DEP_1) | instskip(NEXT) | instid1(VALU_DEP_1)
	v_add_nc_u32_e32 v4, v4, v28
	v_mov_b32_dpp v28, v4 row_shr:4 row_mask:0xf bank_mask:0xf
	s_delay_alu instid0(VALU_DEP_1) | instskip(NEXT) | instid1(VALU_DEP_1)
	v_cndmask_b32_e64 v28, 0, v28, s6
	v_add_nc_u32_e32 v4, v4, v28
	s_delay_alu instid0(VALU_DEP_1) | instskip(NEXT) | instid1(VALU_DEP_1)
	v_mov_b32_dpp v28, v4 row_shr:8 row_mask:0xf bank_mask:0xf
	v_cndmask_b32_e64 v28, 0, v28, s7
	s_delay_alu instid0(VALU_DEP_1) | instskip(SKIP_3) | instid1(VALU_DEP_1)
	v_add_nc_u32_e32 v4, v4, v28
	ds_swizzle_b32 v28, v4 offset:swizzle(BROADCAST,32,15)
	s_waitcnt lgkmcnt(0)
	v_cndmask_b32_e64 v28, v28, 0, s8
	v_add_nc_u32_e32 v4, v4, v28
	s_and_saveexec_b32 s14, s9
	s_cbranch_execz .LBB10_8
; %bb.7:                                ;   in Loop: Header=BB10_3 Depth=1
	ds_store_b32 v20, v4 offset:14848
.LBB10_8:                               ;   in Loop: Header=BB10_3 Depth=1
	s_or_b32 exec_lo, exec_lo, s14
	s_waitcnt lgkmcnt(0)
	s_barrier
	buffer_gl0_inv
	s_and_saveexec_b32 s14, s0
	s_cbranch_execz .LBB10_10
; %bb.9:                                ;   in Loop: Header=BB10_3 Depth=1
	ds_load_b32 v28, v10 offset:14848
	s_waitcnt lgkmcnt(0)
	v_mov_b32_dpp v29, v28 row_shr:1 row_mask:0xf bank_mask:0xf
	s_delay_alu instid0(VALU_DEP_1) | instskip(NEXT) | instid1(VALU_DEP_1)
	v_cndmask_b32_e64 v29, v29, 0, s4
	v_add_nc_u32_e32 v28, v29, v28
	s_delay_alu instid0(VALU_DEP_1) | instskip(NEXT) | instid1(VALU_DEP_1)
	v_mov_b32_dpp v29, v28 row_shr:2 row_mask:0xf bank_mask:0xf
	v_cndmask_b32_e64 v29, 0, v29, s5
	s_delay_alu instid0(VALU_DEP_1) | instskip(NEXT) | instid1(VALU_DEP_1)
	v_add_nc_u32_e32 v28, v28, v29
	v_mov_b32_dpp v29, v28 row_shr:4 row_mask:0xf bank_mask:0xf
	s_delay_alu instid0(VALU_DEP_1) | instskip(NEXT) | instid1(VALU_DEP_1)
	v_cndmask_b32_e64 v29, 0, v29, s6
	v_add_nc_u32_e32 v28, v28, v29
	s_delay_alu instid0(VALU_DEP_1) | instskip(NEXT) | instid1(VALU_DEP_1)
	v_mov_b32_dpp v29, v28 row_shr:8 row_mask:0xf bank_mask:0xf
	v_cndmask_b32_e64 v29, 0, v29, s7
	s_delay_alu instid0(VALU_DEP_1)
	v_add_nc_u32_e32 v28, v28, v29
	ds_store_b32 v10, v28 offset:14848
.LBB10_10:                              ;   in Loop: Header=BB10_3 Depth=1
	s_or_b32 exec_lo, exec_lo, s14
	v_mov_b32_e32 v28, 0
	s_waitcnt lgkmcnt(0)
	s_barrier
	buffer_gl0_inv
	s_and_saveexec_b32 s14, s1
	s_cbranch_execz .LBB10_12
; %bb.11:                               ;   in Loop: Header=BB10_3 Depth=1
	ds_load_b32 v28, v20 offset:14844
.LBB10_12:                              ;   in Loop: Header=BB10_3 Depth=1
	s_or_b32 exec_lo, exec_lo, s14
	s_waitcnt lgkmcnt(0)
	v_add_nc_u32_e32 v4, v28, v4
	ds_load_b32 v29, v22 offset:14904
	s_add_i32 s18, s18, 4
	s_delay_alu instid0(SALU_CYCLE_1) | instskip(SKIP_3) | instid1(VALU_DEP_1)
	s_cmp_ge_u32 s18, s19
	ds_bpermute_b32 v4, v19, v4
	s_waitcnt lgkmcnt(0)
	v_cndmask_b32_e64 v4, v4, v28, s10
	v_lshl_add_u32 v4, v29, 16, v4
	s_delay_alu instid0(VALU_DEP_1) | instskip(NEXT) | instid1(VALU_DEP_1)
	v_add_nc_u32_e32 v5, v4, v5
	v_add_nc_u32_e32 v6, v5, v6
	s_delay_alu instid0(VALU_DEP_1) | instskip(NEXT) | instid1(VALU_DEP_1)
	v_add_nc_u32_e32 v7, v6, v7
	v_add_nc_u32_e32 v28, v7, v8
	;; [unrolled: 3-line block ×3, first 2 shown]
	s_delay_alu instid0(VALU_DEP_1)
	v_add_nc_u32_e32 v2, v1, v3
	ds_store_2addr_b64 v9, v[4:5], v[6:7] offset1:1
	ds_store_2addr_b64 v9, v[28:29], v[1:2] offset0:2 offset1:3
	v_mov_b32_e32 v1, v17
	s_waitcnt lgkmcnt(0)
	s_barrier
	buffer_gl0_inv
	ds_load_u16 v3, v25
	ds_load_u16 v2, v27
	v_and_b32_e32 v5, 0xffff, v24
	v_and_b32_e32 v4, 0xffff, v26
	s_waitcnt lgkmcnt(0)
	s_cbranch_scc0 .LBB10_2
; %bb.13:
                                        ; implicit-def: $vgpr17
                                        ; implicit-def: $sgpr11
.LBB10_14:
	s_delay_alu instid0(VALU_DEP_2) | instskip(NEXT) | instid1(VALU_DEP_2)
	v_add_nc_u32_e32 v3, v3, v5
	v_add_nc_u32_e32 v2, v2, v4
	s_mov_b32 s4, 0
	s_barrier
	buffer_gl0_inv
	ds_store_b8 v3, v1
	ds_store_b8 v2, v23
	s_waitcnt lgkmcnt(0)
	s_barrier
.LBB10_15:
	s_and_b32 vcc_lo, exec_lo, s4
	s_cbranch_vccz .LBB10_35
; %bb.16:
	v_mad_i32_i24 v17, 0xffffffe4, v0, v9
	v_mov_b32_e32 v1, 0
	v_cmp_gt_u32_e64 s3, 0x3a0, v0
	ds_store_b32 v17, v1
	ds_store_b32 v17, v1 offset:1856
	ds_store_b32 v17, v1 offset:3712
	;; [unrolled: 1-line block ×5, first 2 shown]
	s_and_saveexec_b32 s0, s3
	s_cbranch_execz .LBB10_19
; %bb.17:
	v_cmp_gt_u32_e32 vcc_lo, 0x1d0, v0
	ds_store_b32 v17, v1 offset:11136
	s_and_b32 exec_lo, exec_lo, vcc_lo
	s_cbranch_execz .LBB10_19
; %bb.18:
	v_mov_b32_e32 v1, 0
	ds_store_b32 v17, v1 offset:12992
.LBB10_19:
	s_or_b32 exec_lo, exec_lo, s0
	v_and_b32_e32 v1, 7, v12
	v_lshrrev_b16 v2, 2, v12
	v_min_u32_e32 v16, 0x1b0, v16
	v_and_b32_e32 v24, 16, v14
	v_and_b32_e32 v15, 60, v15
	v_mad_u32_u24 v1, 0x1d0, v1, v0
	v_and_b32_e32 v2, 2, v2
	v_add_nc_u32_e32 v16, 31, v16
	v_cmp_eq_u32_e64 s7, 0, v24
	s_delay_alu instid0(VALU_DEP_3)
	v_lshl_or_b32 v19, v1, 2, v2
	v_and_b32_e32 v1, 7, v13
	v_lshrrev_b16 v2, 2, v13
	v_cmp_eq_u32_e64 s5, v16, v0
	ds_load_u16 v18, v19
	v_mad_u32_u24 v1, 0x1d0, v1, v0
	v_and_b32_e32 v2, 2, v2
	s_delay_alu instid0(VALU_DEP_1)
	v_lshl_or_b32 v20, v1, 2, v2
	s_waitcnt lgkmcnt(0)
	v_add_nc_u16 v3, v18, 1
	ds_store_b16 v19, v3
	ds_load_u16 v21, v20
	s_waitcnt lgkmcnt(0)
	v_add_nc_u16 v1, v21, 1
	ds_store_b16 v20, v1
	s_waitcnt lgkmcnt(0)
	s_barrier
	buffer_gl0_inv
	ds_load_2addr_b64 v[5:8], v9 offset1:1
	ds_load_2addr_b64 v[1:4], v9 offset0:2 offset1:3
	s_waitcnt lgkmcnt(1)
	v_add_nc_u32_e32 v22, v6, v5
	s_delay_alu instid0(VALU_DEP_1) | instskip(SKIP_1) | instid1(VALU_DEP_1)
	v_add3_u32 v22, v22, v7, v8
	s_waitcnt lgkmcnt(0)
	v_add3_u32 v22, v22, v1, v2
	s_delay_alu instid0(VALU_DEP_1) | instskip(SKIP_1) | instid1(VALU_DEP_2)
	v_add3_u32 v4, v22, v3, v4
	v_and_b32_e32 v22, 15, v14
	v_mov_b32_dpp v23, v4 row_shr:1 row_mask:0xf bank_mask:0xf
	s_delay_alu instid0(VALU_DEP_2) | instskip(SKIP_4) | instid1(VALU_DEP_1)
	v_cmp_eq_u32_e32 vcc_lo, 0, v22
	v_cmp_lt_u32_e64 s0, 1, v22
	v_cmp_lt_u32_e64 s1, 3, v22
	;; [unrolled: 1-line block ×3, first 2 shown]
	v_cndmask_b32_e64 v23, v23, 0, vcc_lo
	v_add_nc_u32_e32 v4, v23, v4
	s_delay_alu instid0(VALU_DEP_1) | instskip(NEXT) | instid1(VALU_DEP_1)
	v_mov_b32_dpp v23, v4 row_shr:2 row_mask:0xf bank_mask:0xf
	v_cndmask_b32_e64 v23, 0, v23, s0
	s_delay_alu instid0(VALU_DEP_1) | instskip(NEXT) | instid1(VALU_DEP_1)
	v_add_nc_u32_e32 v4, v4, v23
	v_mov_b32_dpp v23, v4 row_shr:4 row_mask:0xf bank_mask:0xf
	s_delay_alu instid0(VALU_DEP_1) | instskip(NEXT) | instid1(VALU_DEP_1)
	v_cndmask_b32_e64 v23, 0, v23, s1
	v_add_nc_u32_e32 v4, v4, v23
	s_delay_alu instid0(VALU_DEP_1) | instskip(NEXT) | instid1(VALU_DEP_1)
	v_mov_b32_dpp v23, v4 row_shr:8 row_mask:0xf bank_mask:0xf
	v_cndmask_b32_e64 v22, 0, v23, s2
	v_bfe_i32 v23, v14, 4, 1
	s_delay_alu instid0(VALU_DEP_2) | instskip(SKIP_3) | instid1(VALU_DEP_1)
	v_add_nc_u32_e32 v4, v4, v22
	ds_swizzle_b32 v22, v4 offset:swizzle(BROADCAST,32,15)
	s_waitcnt lgkmcnt(0)
	v_and_b32_e32 v22, v23, v22
	v_add_nc_u32_e32 v16, v4, v22
	s_and_saveexec_b32 s4, s5
	s_cbranch_execz .LBB10_21
; %bb.20:
	ds_store_b32 v15, v16 offset:14848
.LBB10_21:
	s_or_b32 exec_lo, exec_lo, s4
	v_cmp_gt_u32_e64 s6, 15, v0
	s_waitcnt lgkmcnt(0)
	s_barrier
	buffer_gl0_inv
	s_and_saveexec_b32 s4, s6
	s_cbranch_execz .LBB10_23
; %bb.22:
	ds_load_b32 v4, v17 offset:14848
	s_waitcnt lgkmcnt(0)
	v_mov_b32_dpp v22, v4 row_shr:1 row_mask:0xf bank_mask:0xf
	s_delay_alu instid0(VALU_DEP_1) | instskip(NEXT) | instid1(VALU_DEP_1)
	v_cndmask_b32_e64 v22, v22, 0, vcc_lo
	v_add_nc_u32_e32 v4, v22, v4
	s_delay_alu instid0(VALU_DEP_1) | instskip(NEXT) | instid1(VALU_DEP_1)
	v_mov_b32_dpp v22, v4 row_shr:2 row_mask:0xf bank_mask:0xf
	v_cndmask_b32_e64 v22, 0, v22, s0
	s_delay_alu instid0(VALU_DEP_1) | instskip(NEXT) | instid1(VALU_DEP_1)
	v_add_nc_u32_e32 v4, v4, v22
	v_mov_b32_dpp v22, v4 row_shr:4 row_mask:0xf bank_mask:0xf
	s_delay_alu instid0(VALU_DEP_1) | instskip(NEXT) | instid1(VALU_DEP_1)
	v_cndmask_b32_e64 v22, 0, v22, s1
	v_add_nc_u32_e32 v4, v4, v22
	s_delay_alu instid0(VALU_DEP_1) | instskip(NEXT) | instid1(VALU_DEP_1)
	v_mov_b32_dpp v22, v4 row_shr:8 row_mask:0xf bank_mask:0xf
	v_cndmask_b32_e64 v22, 0, v22, s2
	s_delay_alu instid0(VALU_DEP_1)
	v_add_nc_u32_e32 v4, v4, v22
	ds_store_b32 v17, v4 offset:14848
.LBB10_23:
	s_or_b32 exec_lo, exec_lo, s4
	v_cmp_lt_u32_e64 s4, 31, v0
	v_mov_b32_e32 v4, 0
	v_mov_b32_e32 v22, 0
	s_waitcnt lgkmcnt(0)
	s_barrier
	buffer_gl0_inv
	s_and_saveexec_b32 s8, s4
	s_cbranch_execz .LBB10_25
; %bb.24:
	ds_load_b32 v22, v15 offset:14844
.LBB10_25:
	s_or_b32 exec_lo, exec_lo, s8
	v_add_nc_u32_e32 v23, -1, v14
	s_waitcnt lgkmcnt(0)
	v_add_nc_u32_e32 v24, v22, v16
	s_delay_alu instid0(VALU_DEP_2) | instskip(NEXT) | instid1(VALU_DEP_1)
	v_cmp_gt_i32_e64 s8, 0, v23
	v_cndmask_b32_e64 v23, v23, v14, s8
	v_cmp_eq_u32_e64 s8, 0, v14
	s_delay_alu instid0(VALU_DEP_2)
	v_lshlrev_b32_e32 v16, 2, v23
	ds_bpermute_b32 v23, v16, v24
	ds_load_b32 v24, v4 offset:14904
	s_waitcnt lgkmcnt(1)
	v_cndmask_b32_e64 v14, v23, v22, s8
	s_waitcnt lgkmcnt(0)
	s_delay_alu instid0(VALU_DEP_1) | instskip(NEXT) | instid1(VALU_DEP_1)
	v_lshl_add_u32 v22, v24, 16, v14
	v_add_nc_u32_e32 v23, v22, v5
	s_delay_alu instid0(VALU_DEP_1) | instskip(NEXT) | instid1(VALU_DEP_1)
	v_add_nc_u32_e32 v5, v23, v6
	v_add_nc_u32_e32 v6, v5, v7
	s_delay_alu instid0(VALU_DEP_1) | instskip(NEXT) | instid1(VALU_DEP_1)
	v_add_nc_u32_e32 v7, v6, v8
	;; [unrolled: 3-line block ×3, first 2 shown]
	v_add_nc_u32_e32 v2, v1, v3
	v_and_b32_e32 v3, 0xffff, v18
	ds_store_2addr_b64 v9, v[22:23], v[5:6] offset1:1
	ds_store_2addr_b64 v9, v[7:8], v[1:2] offset0:2 offset1:3
	s_waitcnt lgkmcnt(0)
	s_barrier
	buffer_gl0_inv
	ds_load_u16 v1, v19
	ds_load_u16 v2, v20
	v_and_b32_e32 v5, 0xffff, v21
	v_sub_nc_u32_e32 v6, v17, v11
	s_waitcnt lgkmcnt(0)
	s_barrier
	buffer_gl0_inv
	v_add_nc_u32_e32 v1, v1, v3
	v_add_nc_u32_e32 v2, v2, v5
	ds_store_b8 v1, v12
	ds_store_b8 v2, v13
	s_waitcnt lgkmcnt(0)
	s_barrier
	buffer_gl0_inv
	ds_load_u16 v11, v6
	s_waitcnt lgkmcnt(0)
	s_barrier
	buffer_gl0_inv
	ds_store_b32 v10, v4
	ds_store_b32 v10, v4 offset:1856
	ds_store_b32 v10, v4 offset:3712
	;; [unrolled: 1-line block ×5, first 2 shown]
	s_and_saveexec_b32 s9, s3
	s_cbranch_execz .LBB10_28
; %bb.26:
	v_mov_b32_e32 v1, 0
	v_cmp_gt_u32_e64 s3, 0x1d0, v0
	ds_store_b32 v10, v1 offset:11136
	s_and_b32 exec_lo, exec_lo, s3
	s_cbranch_execz .LBB10_28
; %bb.27:
	ds_store_b32 v10, v1 offset:12992
.LBB10_28:
	s_or_b32 exec_lo, exec_lo, s9
	v_lshrrev_b16 v1, 4, v11
	s_delay_alu instid0(VALU_DEP_1) | instskip(NEXT) | instid1(VALU_DEP_1)
	v_and_b32_e32 v1, 15, v1
	v_and_b32_e32 v1, 0xffff, v1
	s_delay_alu instid0(VALU_DEP_1) | instskip(SKIP_1) | instid1(VALU_DEP_2)
	v_and_b32_e32 v2, 7, v1
	v_lshrrev_b32_e32 v1, 2, v1
	v_mad_u32_u24 v2, 0x1d0, v2, v0
	s_delay_alu instid0(VALU_DEP_2) | instskip(NEXT) | instid1(VALU_DEP_1)
	v_and_b32_e32 v1, 2, v1
	v_lshl_or_b32 v10, v2, 2, v1
	v_lshrrev_b16 v1, 12, v11
	ds_load_u16 v12, v10
	v_and_b32_e32 v1, 0xffff, v1
	s_delay_alu instid0(VALU_DEP_1) | instskip(SKIP_1) | instid1(VALU_DEP_2)
	v_and_b32_e32 v2, 7, v1
	v_lshrrev_b32_e32 v1, 2, v1
	v_mad_u32_u24 v2, 0x1d0, v2, v0
	s_delay_alu instid0(VALU_DEP_2) | instskip(NEXT) | instid1(VALU_DEP_1)
	v_and_b32_e32 v1, 2, v1
	v_lshl_or_b32 v13, v2, 2, v1
	s_waitcnt lgkmcnt(0)
	v_add_nc_u16 v3, v12, 1
	ds_store_b16 v10, v3
	ds_load_u16 v14, v13
	s_waitcnt lgkmcnt(0)
	v_add_nc_u16 v1, v14, 1
	ds_store_b16 v13, v1
	s_waitcnt lgkmcnt(0)
	s_barrier
	buffer_gl0_inv
	ds_load_2addr_b64 v[5:8], v9 offset1:1
	ds_load_2addr_b64 v[1:4], v9 offset0:2 offset1:3
	s_waitcnt lgkmcnt(1)
	v_add_nc_u32_e32 v18, v6, v5
	s_delay_alu instid0(VALU_DEP_1) | instskip(SKIP_1) | instid1(VALU_DEP_1)
	v_add3_u32 v18, v18, v7, v8
	s_waitcnt lgkmcnt(0)
	v_add3_u32 v18, v18, v1, v2
	s_delay_alu instid0(VALU_DEP_1) | instskip(NEXT) | instid1(VALU_DEP_1)
	v_add3_u32 v4, v18, v3, v4
	v_mov_b32_dpp v18, v4 row_shr:1 row_mask:0xf bank_mask:0xf
	s_delay_alu instid0(VALU_DEP_1) | instskip(NEXT) | instid1(VALU_DEP_1)
	v_cndmask_b32_e64 v18, v18, 0, vcc_lo
	v_add_nc_u32_e32 v4, v18, v4
	s_delay_alu instid0(VALU_DEP_1) | instskip(NEXT) | instid1(VALU_DEP_1)
	v_mov_b32_dpp v18, v4 row_shr:2 row_mask:0xf bank_mask:0xf
	v_cndmask_b32_e64 v18, 0, v18, s0
	s_delay_alu instid0(VALU_DEP_1) | instskip(NEXT) | instid1(VALU_DEP_1)
	v_add_nc_u32_e32 v4, v4, v18
	v_mov_b32_dpp v18, v4 row_shr:4 row_mask:0xf bank_mask:0xf
	s_delay_alu instid0(VALU_DEP_1) | instskip(NEXT) | instid1(VALU_DEP_1)
	v_cndmask_b32_e64 v18, 0, v18, s1
	v_add_nc_u32_e32 v4, v4, v18
	s_delay_alu instid0(VALU_DEP_1) | instskip(NEXT) | instid1(VALU_DEP_1)
	v_mov_b32_dpp v18, v4 row_shr:8 row_mask:0xf bank_mask:0xf
	v_cndmask_b32_e64 v18, 0, v18, s2
	s_delay_alu instid0(VALU_DEP_1) | instskip(SKIP_3) | instid1(VALU_DEP_1)
	v_add_nc_u32_e32 v4, v4, v18
	ds_swizzle_b32 v18, v4 offset:swizzle(BROADCAST,32,15)
	s_waitcnt lgkmcnt(0)
	v_cndmask_b32_e64 v18, v18, 0, s7
	v_add_nc_u32_e32 v18, v4, v18
	s_and_saveexec_b32 s3, s5
	s_cbranch_execz .LBB10_30
; %bb.29:
	ds_store_b32 v15, v18 offset:14848
.LBB10_30:
	s_or_b32 exec_lo, exec_lo, s3
	s_waitcnt lgkmcnt(0)
	s_barrier
	buffer_gl0_inv
	s_and_saveexec_b32 s3, s6
	s_cbranch_execz .LBB10_32
; %bb.31:
	ds_load_b32 v4, v17 offset:14848
	s_waitcnt lgkmcnt(0)
	v_mov_b32_dpp v19, v4 row_shr:1 row_mask:0xf bank_mask:0xf
	s_delay_alu instid0(VALU_DEP_1) | instskip(NEXT) | instid1(VALU_DEP_1)
	v_cndmask_b32_e64 v19, v19, 0, vcc_lo
	v_add_nc_u32_e32 v4, v19, v4
	s_delay_alu instid0(VALU_DEP_1) | instskip(NEXT) | instid1(VALU_DEP_1)
	v_mov_b32_dpp v19, v4 row_shr:2 row_mask:0xf bank_mask:0xf
	v_cndmask_b32_e64 v19, 0, v19, s0
	s_delay_alu instid0(VALU_DEP_1) | instskip(NEXT) | instid1(VALU_DEP_1)
	v_add_nc_u32_e32 v4, v4, v19
	v_mov_b32_dpp v19, v4 row_shr:4 row_mask:0xf bank_mask:0xf
	s_delay_alu instid0(VALU_DEP_1) | instskip(NEXT) | instid1(VALU_DEP_1)
	v_cndmask_b32_e64 v19, 0, v19, s1
	v_add_nc_u32_e32 v4, v4, v19
	s_delay_alu instid0(VALU_DEP_1) | instskip(NEXT) | instid1(VALU_DEP_1)
	v_mov_b32_dpp v19, v4 row_shr:8 row_mask:0xf bank_mask:0xf
	v_cndmask_b32_e64 v19, 0, v19, s2
	s_delay_alu instid0(VALU_DEP_1)
	v_add_nc_u32_e32 v4, v4, v19
	ds_store_b32 v17, v4 offset:14848
.LBB10_32:
	s_or_b32 exec_lo, exec_lo, s3
	v_lshrrev_b16 v4, 8, v11
	v_mov_b32_e32 v17, 0
	v_mov_b32_e32 v19, 0
	s_waitcnt lgkmcnt(0)
	s_barrier
	buffer_gl0_inv
	s_and_saveexec_b32 s0, s4
	s_cbranch_execz .LBB10_34
; %bb.33:
	ds_load_b32 v19, v15 offset:14844
.LBB10_34:
	s_or_b32 exec_lo, exec_lo, s0
	s_waitcnt lgkmcnt(0)
	v_add_nc_u32_e32 v15, v19, v18
	ds_bpermute_b32 v15, v16, v15
	ds_load_b32 v16, v17 offset:14904
	s_waitcnt lgkmcnt(1)
	v_cndmask_b32_e64 v15, v15, v19, s8
	s_waitcnt lgkmcnt(0)
	s_delay_alu instid0(VALU_DEP_1) | instskip(NEXT) | instid1(VALU_DEP_1)
	v_lshl_add_u32 v15, v16, 16, v15
	v_add_nc_u32_e32 v16, v15, v5
	s_delay_alu instid0(VALU_DEP_1) | instskip(NEXT) | instid1(VALU_DEP_1)
	v_add_nc_u32_e32 v5, v16, v6
	v_add_nc_u32_e32 v6, v5, v7
	s_delay_alu instid0(VALU_DEP_1) | instskip(NEXT) | instid1(VALU_DEP_1)
	v_add_nc_u32_e32 v7, v6, v8
	;; [unrolled: 3-line block ×3, first 2 shown]
	v_add_nc_u32_e32 v2, v1, v3
	v_and_b32_e32 v3, 0xffff, v12
	ds_store_2addr_b64 v9, v[15:16], v[5:6] offset1:1
	ds_store_2addr_b64 v9, v[7:8], v[1:2] offset0:2 offset1:3
	s_waitcnt lgkmcnt(0)
	s_barrier
	buffer_gl0_inv
	ds_load_u16 v1, v10
	ds_load_u16 v2, v13
	v_and_b32_e32 v5, 0xffff, v14
	s_waitcnt lgkmcnt(0)
	s_barrier
	buffer_gl0_inv
	v_add_nc_u32_e32 v1, v1, v3
	v_add_nc_u32_e32 v2, v2, v5
	ds_store_b8 v1, v11
	ds_store_b8 v2, v4
	s_waitcnt lgkmcnt(0)
	s_barrier
.LBB10_35:
	buffer_gl0_inv
	ds_load_u8 v1, v0
	ds_load_u8 v2, v0 offset:464
	s_waitcnt lgkmcnt(1)
	v_xor_b32_e32 v1, 0x7f, v1
	s_waitcnt lgkmcnt(0)
	v_xor_b32_e32 v2, 0x7f, v2
	s_clause 0x1
	global_store_b8 v0, v1, s[12:13]
	global_store_b8 v0, v2, s[12:13] offset:464
	s_nop 0
	s_sendmsg sendmsg(MSG_DEALLOC_VGPRS)
	s_endpgm
	.section	.rodata,"a",@progbits
	.p2align	6, 0x0
	.amdhsa_kernel _Z15sort_key_kernelILj464ELj2ELb1ELb1EcEvPT3_jj
		.amdhsa_group_segment_fixed_size 14912
		.amdhsa_private_segment_fixed_size 0
		.amdhsa_kernarg_size 16
		.amdhsa_user_sgpr_count 15
		.amdhsa_user_sgpr_dispatch_ptr 0
		.amdhsa_user_sgpr_queue_ptr 0
		.amdhsa_user_sgpr_kernarg_segment_ptr 1
		.amdhsa_user_sgpr_dispatch_id 0
		.amdhsa_user_sgpr_private_segment_size 0
		.amdhsa_wavefront_size32 1
		.amdhsa_uses_dynamic_stack 0
		.amdhsa_enable_private_segment 0
		.amdhsa_system_sgpr_workgroup_id_x 1
		.amdhsa_system_sgpr_workgroup_id_y 0
		.amdhsa_system_sgpr_workgroup_id_z 0
		.amdhsa_system_sgpr_workgroup_info 0
		.amdhsa_system_vgpr_workitem_id 0
		.amdhsa_next_free_vgpr 30
		.amdhsa_next_free_sgpr 20
		.amdhsa_reserve_vcc 1
		.amdhsa_float_round_mode_32 0
		.amdhsa_float_round_mode_16_64 0
		.amdhsa_float_denorm_mode_32 3
		.amdhsa_float_denorm_mode_16_64 3
		.amdhsa_dx10_clamp 1
		.amdhsa_ieee_mode 1
		.amdhsa_fp16_overflow 0
		.amdhsa_workgroup_processor_mode 1
		.amdhsa_memory_ordered 1
		.amdhsa_forward_progress 0
		.amdhsa_shared_vgpr_count 0
		.amdhsa_exception_fp_ieee_invalid_op 0
		.amdhsa_exception_fp_denorm_src 0
		.amdhsa_exception_fp_ieee_div_zero 0
		.amdhsa_exception_fp_ieee_overflow 0
		.amdhsa_exception_fp_ieee_underflow 0
		.amdhsa_exception_fp_ieee_inexact 0
		.amdhsa_exception_int_div_zero 0
	.end_amdhsa_kernel
	.section	.text._Z15sort_key_kernelILj464ELj2ELb1ELb1EcEvPT3_jj,"axG",@progbits,_Z15sort_key_kernelILj464ELj2ELb1ELb1EcEvPT3_jj,comdat
.Lfunc_end10:
	.size	_Z15sort_key_kernelILj464ELj2ELb1ELb1EcEvPT3_jj, .Lfunc_end10-_Z15sort_key_kernelILj464ELj2ELb1ELb1EcEvPT3_jj
                                        ; -- End function
	.section	.AMDGPU.csdata,"",@progbits
; Kernel info:
; codeLenInByte = 3380
; NumSgprs: 22
; NumVgprs: 30
; ScratchSize: 0
; MemoryBound: 0
; FloatMode: 240
; IeeeMode: 1
; LDSByteSize: 14912 bytes/workgroup (compile time only)
; SGPRBlocks: 2
; VGPRBlocks: 3
; NumSGPRsForWavesPerEU: 22
; NumVGPRsForWavesPerEU: 30
; Occupancy: 15
; WaveLimiterHint : 1
; COMPUTE_PGM_RSRC2:SCRATCH_EN: 0
; COMPUTE_PGM_RSRC2:USER_SGPR: 15
; COMPUTE_PGM_RSRC2:TRAP_HANDLER: 0
; COMPUTE_PGM_RSRC2:TGID_X_EN: 1
; COMPUTE_PGM_RSRC2:TGID_Y_EN: 0
; COMPUTE_PGM_RSRC2:TGID_Z_EN: 0
; COMPUTE_PGM_RSRC2:TIDIG_COMP_CNT: 0
	.section	.text._Z15sort_key_kernelILj33ELj5ELb0ELb0EdEvPT3_jj,"axG",@progbits,_Z15sort_key_kernelILj33ELj5ELb0ELb0EdEvPT3_jj,comdat
	.protected	_Z15sort_key_kernelILj33ELj5ELb0ELb0EdEvPT3_jj ; -- Begin function _Z15sort_key_kernelILj33ELj5ELb0ELb0EdEvPT3_jj
	.globl	_Z15sort_key_kernelILj33ELj5ELb0ELb0EdEvPT3_jj
	.p2align	8
	.type	_Z15sort_key_kernelILj33ELj5ELb0ELb0EdEvPT3_jj,@function
_Z15sort_key_kernelILj33ELj5ELb0ELb0EdEvPT3_jj: ; @_Z15sort_key_kernelILj33ELj5ELb0ELb0EdEvPT3_jj
; %bb.0:
	s_load_b128 s[16:19], s[0:1], 0x0
	v_mbcnt_lo_u32_b32 v12, -1, 0
	v_mul_u32_u24_e32 v1, 5, v0
	v_cmp_gt_u32_e32 vcc_lo, 32, v0
	s_mov_b32 s1, 0
	s_mul_i32 s0, s15, 0xa5
	v_add_nc_u32_e32 v16, -1, v12
	s_lshl_b64 s[0:1], s[0:1], 3
	v_cndmask_b32_e64 v15, 32, 31, vcc_lo
	v_and_b32_e32 v13, 15, v12
	v_and_b32_e32 v14, 16, v12
	v_cmp_gt_i32_e32 vcc_lo, 0, v16
	v_lshlrev_b32_e32 v11, 3, v1
	v_cmp_eq_u32_e64 s3, 0, v12
	v_and_b32_e32 v18, 1, v12
	v_lshrrev_b32_e32 v17, 3, v0
	v_cndmask_b32_e32 v12, v16, v12, vcc_lo
	v_cmp_eq_u32_e64 s4, 0, v13
	v_cmp_lt_u32_e64 s5, 1, v13
	v_cmp_lt_u32_e64 s6, 3, v13
	s_waitcnt lgkmcnt(0)
	s_add_u32 s20, s16, s0
	s_addc_u32 s21, s17, s1
	s_cmp_eq_u32 s18, 0
	s_clause 0x2
	global_load_b128 v[1:4], v11, s[20:21]
	global_load_b128 v[5:8], v11, s[20:21] offset:16
	global_load_b64 v[9:10], v11, s[20:21] offset:32
	s_cselect_b32 s17, -1, 0
	s_cmp_eq_u32 s19, 64
	v_and_b32_e32 v35, 4, v17
	s_cselect_b32 s22, -1, 0
	v_add_co_u32 v17, s20, s20, v11
	s_and_b32 s17, s17, s22
	v_cmp_lt_u32_e64 s7, 7, v13
	s_and_b32 vcc_lo, exec_lo, s17
	v_cmp_eq_u32_e64 s9, v15, v0
	v_lshlrev_b32_e32 v33, 5, v0
	v_cmp_eq_u32_e64 s8, 0, v14
	v_lshlrev_b32_e32 v37, 2, v12
	v_cmp_gt_u32_e64 s0, 0x108, v0
	v_cmp_lt_u32_e64 s1, 31, v0
	v_mad_i32_i24 v36, 0xffffffe4, v0, v33
	v_cmp_gt_u32_e64 s2, 2, v0
	v_cmp_gt_u32_e64 s11, 0xe7, v0
	;; [unrolled: 1-line block ×7, first 2 shown]
	v_cmp_eq_u32_e64 s10, 0, v18
	v_mad_u32_u24 v34, v0, 36, v36
	v_add_co_ci_u32_e64 v18, null, s21, 0, s20
	s_mov_b32 s20, -1
	s_waitcnt vmcnt(2)
	v_cmp_lt_i64_e64 s17, -1, v[1:2]
	v_ashrrev_i32_e32 v12, 31, v2
	v_ashrrev_i32_e32 v14, 31, v4
	s_waitcnt vmcnt(1)
	v_ashrrev_i32_e32 v16, 31, v6
	v_ashrrev_i32_e32 v20, 31, v8
	s_waitcnt vmcnt(0)
	v_ashrrev_i32_e32 v22, 31, v10
	v_cndmask_b32_e64 v11, -1, 0x80000000, s17
	v_cmp_lt_i64_e64 s17, -1, v[3:4]
	v_xor_b32_e32 v1, v12, v1
	v_xor_b32_e32 v3, v14, v3
	s_delay_alu instid0(VALU_DEP_4) | instskip(NEXT) | instid1(VALU_DEP_4)
	v_xor_b32_e32 v2, v11, v2
	v_cndmask_b32_e64 v13, -1, 0x80000000, s17
	v_cmp_lt_i64_e64 s17, -1, v[5:6]
	v_xor_b32_e32 v5, v16, v5
	s_delay_alu instid0(VALU_DEP_3) | instskip(NEXT) | instid1(VALU_DEP_3)
	v_xor_b32_e32 v4, v13, v4
	v_cndmask_b32_e64 v15, -1, 0x80000000, s17
	v_cmp_lt_i64_e64 s17, -1, v[7:8]
	v_xor_b32_e32 v7, v20, v7
	s_delay_alu instid0(VALU_DEP_3) | instskip(NEXT) | instid1(VALU_DEP_3)
	v_xor_b32_e32 v6, v15, v6
	v_cndmask_b32_e64 v19, -1, 0x80000000, s17
	v_cmp_lt_i64_e64 s17, -1, v[9:10]
	s_delay_alu instid0(VALU_DEP_2) | instskip(SKIP_1) | instid1(VALU_DEP_3)
	v_xor_b32_e32 v8, v19, v8
	v_xor_b32_e32 v19, v22, v9
	v_cndmask_b32_e64 v21, -1, 0x80000000, s17
	v_cmp_gt_u32_e64 s17, 33, v0
	s_delay_alu instid0(VALU_DEP_2)
	v_xor_b32_e32 v20, v21, v10
	s_cbranch_vccnz .LBB11_21
; %bb.1:
	v_dual_mov_b32 v39, 0 :: v_dual_lshlrev_b32 v38, 2, v0
	v_dual_mov_b32 v10, v2 :: v_dual_mov_b32 v9, v1
	v_dual_mov_b32 v12, v4 :: v_dual_mov_b32 v11, v3
	v_dual_mov_b32 v14, v6 :: v_dual_mov_b32 v13, v5
	v_dual_mov_b32 v16, v8 :: v_dual_mov_b32 v15, v7
	v_dual_mov_b32 v32, v20 :: v_dual_mov_b32 v31, v19
	s_mov_b32 s20, -1
	s_brev_b32 s21, -2
	s_sub_i32 s22, s19, s18
	s_branch .LBB11_3
.LBB11_2:                               ;   in Loop: Header=BB11_3 Depth=1
	s_barrier
	buffer_gl0_inv
	ds_store_b64 v40, v[29:30]
	ds_store_b64 v41, v[27:28]
	;; [unrolled: 1-line block ×5, first 2 shown]
	s_waitcnt lgkmcnt(0)
	s_barrier
	buffer_gl0_inv
	ds_load_2addr_b64 v[9:12], v34 offset1:1
	ds_load_2addr_b64 v[13:16], v34 offset0:2 offset1:3
	ds_load_b64 v[31:32], v34 offset:32
	s_add_i32 s22, s22, -4
	s_waitcnt lgkmcnt(0)
	s_barrier
	buffer_gl0_inv
	s_cbranch_execz .LBB11_20
.LBB11_3:                               ; =>This Inner Loop Header: Depth=1
	v_dual_mov_b32 v21, v31 :: v_dual_mov_b32 v22, v32
	v_dual_mov_b32 v24, v16 :: v_dual_mov_b32 v23, v15
	;; [unrolled: 1-line block ×5, first 2 shown]
	s_and_saveexec_b32 s23, s0
	s_cbranch_execz .LBB11_12
; %bb.4:                                ;   in Loop: Header=BB11_3 Depth=1
	ds_store_b32 v38, v39
	s_and_b32 exec_lo, exec_lo, s11
	s_cbranch_execz .LBB11_12
; %bb.5:                                ;   in Loop: Header=BB11_3 Depth=1
	ds_store_b32 v38, v39 offset:132
	s_and_b32 exec_lo, exec_lo, s12
	s_cbranch_execz .LBB11_12
; %bb.6:                                ;   in Loop: Header=BB11_3 Depth=1
	ds_store_b32 v38, v39 offset:264
	;; [unrolled: 4-line block ×5, first 2 shown]
	s_and_b32 exec_lo, exec_lo, s16
	s_cbranch_execz .LBB11_12
; %bb.10:                               ;   in Loop: Header=BB11_3 Depth=1
	ds_store_b32 v38, v39 offset:792
	s_and_b32 exec_lo, exec_lo, s17
	s_cbranch_execz .LBB11_12
; %bb.11:                               ;   in Loop: Header=BB11_3 Depth=1
	ds_store_b32 v38, v39 offset:924
.LBB11_12:                              ;   in Loop: Header=BB11_3 Depth=1
	s_or_b32 exec_lo, exec_lo, s23
	s_delay_alu instid0(VALU_DEP_1) | instskip(SKIP_1) | instid1(SALU_CYCLE_1)
	v_cmp_ne_u64_e32 vcc_lo, s[20:21], v[29:30]
	s_min_u32 s23, s22, 4
	s_lshl_b32 s23, -1, s23
	s_delay_alu instid0(SALU_CYCLE_1) | instskip(SKIP_3) | instid1(VALU_DEP_2)
	s_not_b32 s23, s23
	v_cndmask_b32_e32 v10, 0x80000000, v30, vcc_lo
	v_cndmask_b32_e32 v9, 0, v29, vcc_lo
	v_cmp_ne_u64_e32 vcc_lo, s[20:21], v[27:28]
	v_lshrrev_b64 v[9:10], s18, v[9:10]
	v_cndmask_b32_e32 v10, 0x80000000, v28, vcc_lo
	s_delay_alu instid0(VALU_DEP_2) | instskip(NEXT) | instid1(VALU_DEP_1)
	v_and_b32_e32 v11, s23, v9
	v_and_b32_e32 v9, 7, v11
	v_lshrrev_b32_e32 v11, 3, v11
	s_delay_alu instid0(VALU_DEP_2) | instskip(SKIP_2) | instid1(VALU_DEP_3)
	v_mul_u32_u24_e32 v12, 33, v9
	v_cndmask_b32_e32 v9, 0, v27, vcc_lo
	v_cmp_ne_u64_e32 vcc_lo, s[20:21], v[25:26]
	v_add_lshl_u32 v12, v12, v0, 1
	s_delay_alu instid0(VALU_DEP_3) | instskip(SKIP_1) | instid1(VALU_DEP_3)
	v_lshrrev_b64 v[9:10], s18, v[9:10]
	v_cndmask_b32_e32 v10, 0x80000000, v26, vcc_lo
	v_add_lshl_u32 v32, v12, v11, 1
	s_delay_alu instid0(VALU_DEP_3) | instskip(SKIP_3) | instid1(VALU_DEP_2)
	v_and_b32_e32 v11, s23, v9
	ds_load_u16 v31, v32
	v_and_b32_e32 v9, 7, v11
	v_lshrrev_b32_e32 v11, 3, v11
	v_mul_u32_u24_e32 v12, 33, v9
	v_cndmask_b32_e32 v9, 0, v25, vcc_lo
	v_cmp_ne_u64_e32 vcc_lo, s[20:21], v[23:24]
	s_delay_alu instid0(VALU_DEP_3) | instskip(NEXT) | instid1(VALU_DEP_3)
	v_add_lshl_u32 v12, v12, v0, 1
	v_lshrrev_b64 v[9:10], s18, v[9:10]
	s_delay_alu instid0(VALU_DEP_2) | instskip(NEXT) | instid1(VALU_DEP_2)
	v_add_lshl_u32 v41, v12, v11, 1
	v_and_b32_e32 v11, s23, v9
	s_waitcnt lgkmcnt(0)
	v_add_nc_u16 v10, v31, 1
	s_delay_alu instid0(VALU_DEP_2)
	v_and_b32_e32 v9, 7, v11
	ds_store_b16 v32, v10
	ds_load_u16 v40, v41
	v_cndmask_b32_e32 v10, 0x80000000, v24, vcc_lo
	v_lshrrev_b32_e32 v11, 3, v11
	v_mul_u32_u24_e32 v12, 33, v9
	v_cndmask_b32_e32 v9, 0, v23, vcc_lo
	v_cmp_ne_u64_e32 vcc_lo, s[20:21], v[21:22]
	s_delay_alu instid0(VALU_DEP_3) | instskip(NEXT) | instid1(VALU_DEP_3)
	v_add_lshl_u32 v12, v12, v0, 1
	v_lshrrev_b64 v[9:10], s18, v[9:10]
	s_delay_alu instid0(VALU_DEP_2) | instskip(NEXT) | instid1(VALU_DEP_2)
	v_add_lshl_u32 v43, v12, v11, 1
	v_and_b32_e32 v11, s23, v9
	s_delay_alu instid0(VALU_DEP_1) | instskip(SKIP_3) | instid1(VALU_DEP_3)
	v_and_b32_e32 v9, 7, v11
	s_waitcnt lgkmcnt(0)
	v_add_nc_u16 v10, v40, 1
	v_lshrrev_b32_e32 v11, 3, v11
	v_mul_u32_u24_e32 v12, 33, v9
	ds_store_b16 v41, v10
	ds_load_u16 v42, v43
	v_cndmask_b32_e32 v10, 0x80000000, v22, vcc_lo
	v_cndmask_b32_e32 v9, 0, v21, vcc_lo
	v_add_lshl_u32 v12, v12, v0, 1
	s_delay_alu instid0(VALU_DEP_2) | instskip(NEXT) | instid1(VALU_DEP_2)
	v_lshrrev_b64 v[9:10], s18, v[9:10]
	v_add_lshl_u32 v45, v12, v11, 1
	s_delay_alu instid0(VALU_DEP_2)
	v_and_b32_e32 v9, s23, v9
	s_waitcnt lgkmcnt(0)
	v_add_nc_u16 v10, v42, 1
	ds_store_b16 v43, v10
	ds_load_u16 v44, v45
	v_and_b32_e32 v10, 7, v9
	v_lshrrev_b32_e32 v9, 3, v9
	s_delay_alu instid0(VALU_DEP_2) | instskip(NEXT) | instid1(VALU_DEP_1)
	v_mul_u32_u24_e32 v10, 33, v10
	v_add_lshl_u32 v10, v10, v0, 1
	s_delay_alu instid0(VALU_DEP_1)
	v_add_lshl_u32 v47, v10, v9, 1
	s_waitcnt lgkmcnt(0)
	v_add_nc_u16 v11, v44, 1
	ds_store_b16 v45, v11
	ds_load_u16 v46, v47
	s_waitcnt lgkmcnt(0)
	v_add_nc_u16 v9, v46, 1
	ds_store_b16 v47, v9
	s_waitcnt lgkmcnt(0)
	s_barrier
	buffer_gl0_inv
	ds_load_2addr_b64 v[13:16], v33 offset1:1
	ds_load_2addr_b64 v[9:12], v33 offset0:2 offset1:3
	s_waitcnt lgkmcnt(1)
	v_add_nc_u32_e32 v48, v14, v13
	s_delay_alu instid0(VALU_DEP_1) | instskip(SKIP_1) | instid1(VALU_DEP_1)
	v_add3_u32 v48, v48, v15, v16
	s_waitcnt lgkmcnt(0)
	v_add3_u32 v48, v48, v9, v10
	s_delay_alu instid0(VALU_DEP_1) | instskip(NEXT) | instid1(VALU_DEP_1)
	v_add3_u32 v12, v48, v11, v12
	v_mov_b32_dpp v48, v12 row_shr:1 row_mask:0xf bank_mask:0xf
	s_delay_alu instid0(VALU_DEP_1) | instskip(NEXT) | instid1(VALU_DEP_1)
	v_cndmask_b32_e64 v48, v48, 0, s4
	v_add_nc_u32_e32 v12, v48, v12
	s_delay_alu instid0(VALU_DEP_1) | instskip(NEXT) | instid1(VALU_DEP_1)
	v_mov_b32_dpp v48, v12 row_shr:2 row_mask:0xf bank_mask:0xf
	v_cndmask_b32_e64 v48, 0, v48, s5
	s_delay_alu instid0(VALU_DEP_1) | instskip(NEXT) | instid1(VALU_DEP_1)
	v_add_nc_u32_e32 v12, v12, v48
	v_mov_b32_dpp v48, v12 row_shr:4 row_mask:0xf bank_mask:0xf
	s_delay_alu instid0(VALU_DEP_1) | instskip(NEXT) | instid1(VALU_DEP_1)
	v_cndmask_b32_e64 v48, 0, v48, s6
	v_add_nc_u32_e32 v12, v12, v48
	s_delay_alu instid0(VALU_DEP_1) | instskip(NEXT) | instid1(VALU_DEP_1)
	v_mov_b32_dpp v48, v12 row_shr:8 row_mask:0xf bank_mask:0xf
	v_cndmask_b32_e64 v48, 0, v48, s7
	s_delay_alu instid0(VALU_DEP_1) | instskip(SKIP_3) | instid1(VALU_DEP_1)
	v_add_nc_u32_e32 v12, v12, v48
	ds_swizzle_b32 v48, v12 offset:swizzle(BROADCAST,32,15)
	s_waitcnt lgkmcnt(0)
	v_cndmask_b32_e64 v48, v48, 0, s8
	v_add_nc_u32_e32 v12, v12, v48
	s_and_saveexec_b32 s23, s9
	s_cbranch_execz .LBB11_14
; %bb.13:                               ;   in Loop: Header=BB11_3 Depth=1
	ds_store_b32 v35, v12 offset:1056
.LBB11_14:                              ;   in Loop: Header=BB11_3 Depth=1
	s_or_b32 exec_lo, exec_lo, s23
	s_waitcnt lgkmcnt(0)
	s_barrier
	buffer_gl0_inv
	s_and_saveexec_b32 s23, s2
	s_cbranch_execz .LBB11_16
; %bb.15:                               ;   in Loop: Header=BB11_3 Depth=1
	ds_load_b32 v48, v36 offset:1056
	s_waitcnt lgkmcnt(0)
	v_mov_b32_dpp v49, v48 row_shr:1 row_mask:0xf bank_mask:0xf
	s_delay_alu instid0(VALU_DEP_1) | instskip(NEXT) | instid1(VALU_DEP_1)
	v_cndmask_b32_e64 v49, v49, 0, s10
	v_add_nc_u32_e32 v48, v49, v48
	ds_store_b32 v36, v48 offset:1056
.LBB11_16:                              ;   in Loop: Header=BB11_3 Depth=1
	s_or_b32 exec_lo, exec_lo, s23
	v_mov_b32_e32 v48, 0
	s_waitcnt lgkmcnt(0)
	s_barrier
	buffer_gl0_inv
	s_and_saveexec_b32 s23, s1
	s_cbranch_execz .LBB11_18
; %bb.17:                               ;   in Loop: Header=BB11_3 Depth=1
	ds_load_b32 v48, v35 offset:1052
.LBB11_18:                              ;   in Loop: Header=BB11_3 Depth=1
	s_or_b32 exec_lo, exec_lo, s23
	s_waitcnt lgkmcnt(0)
	v_add_nc_u32_e32 v12, v48, v12
	ds_load_b32 v49, v39 offset:1060
	s_add_i32 s18, s18, 4
	s_delay_alu instid0(SALU_CYCLE_1) | instskip(SKIP_3) | instid1(VALU_DEP_1)
	s_cmp_ge_u32 s18, s19
	ds_bpermute_b32 v12, v37, v12
	s_waitcnt lgkmcnt(0)
	v_cndmask_b32_e64 v12, v12, v48, s3
	v_lshl_add_u32 v12, v49, 16, v12
	s_delay_alu instid0(VALU_DEP_1) | instskip(NEXT) | instid1(VALU_DEP_1)
	v_add_nc_u32_e32 v13, v12, v13
	v_add_nc_u32_e32 v14, v13, v14
	s_delay_alu instid0(VALU_DEP_1) | instskip(NEXT) | instid1(VALU_DEP_1)
	v_add_nc_u32_e32 v15, v14, v15
	v_add_nc_u32_e32 v48, v15, v16
	v_and_b32_e32 v16, 0xffff, v42
	s_delay_alu instid0(VALU_DEP_2) | instskip(NEXT) | instid1(VALU_DEP_2)
	v_add_nc_u32_e32 v49, v48, v9
	v_lshlrev_b32_e32 v16, 3, v16
	s_delay_alu instid0(VALU_DEP_2) | instskip(NEXT) | instid1(VALU_DEP_1)
	v_add_nc_u32_e32 v9, v49, v10
	v_add_nc_u32_e32 v10, v9, v11
	ds_store_2addr_b64 v33, v[12:13], v[14:15] offset1:1
	ds_store_2addr_b64 v33, v[48:49], v[9:10] offset0:2 offset1:3
	s_waitcnt lgkmcnt(0)
	s_barrier
	buffer_gl0_inv
	ds_load_u16 v9, v32
	ds_load_u16 v10, v41
	;; [unrolled: 1-line block ×5, first 2 shown]
	v_and_b32_e32 v14, 0xffff, v31
	v_and_b32_e32 v15, 0xffff, v40
	;; [unrolled: 1-line block ×4, first 2 shown]
	s_waitcnt lgkmcnt(0)
	v_lshlrev_b32_e32 v14, 3, v14
	v_lshlrev_b32_e32 v15, 3, v15
	;; [unrolled: 1-line block ×4, first 2 shown]
	s_delay_alu instid0(VALU_DEP_4) | instskip(NEXT) | instid1(VALU_DEP_4)
	v_lshl_add_u32 v40, v9, 3, v14
	v_lshl_add_u32 v41, v10, 3, v15
	;; [unrolled: 1-line block ×5, first 2 shown]
	s_cbranch_scc0 .LBB11_2
; %bb.19:
                                        ; implicit-def: $vgpr31_vgpr32
                                        ; implicit-def: $vgpr15_vgpr16
                                        ; implicit-def: $vgpr11_vgpr12
                                        ; implicit-def: $sgpr22
.LBB11_20:
	s_mov_b32 s20, 0
	s_barrier
	buffer_gl0_inv
	ds_store_b64 v40, v[29:30]
	ds_store_b64 v41, v[27:28]
	;; [unrolled: 1-line block ×5, first 2 shown]
	s_waitcnt lgkmcnt(0)
	s_barrier
.LBB11_21:
	s_and_b32 vcc_lo, exec_lo, s20
	s_cbranch_vccz .LBB11_42
; %bb.22:
	v_mul_i32_i24_e32 v9, 0xffffffdc, v0
	v_cmp_gt_u32_e64 s11, 0xe7, v0
	v_cmp_gt_u32_e64 s12, 0xc6, v0
	;; [unrolled: 1-line block ×7, first 2 shown]
	v_dual_mov_b32 v24, 0 :: v_dual_add_nc_u32 v23, v34, v9
	s_mov_b32 s18, -1
	s_brev_b32 s19, -2
	s_mov_b64 s[20:21], 0
	s_branch .LBB11_24
.LBB11_23:                              ;   in Loop: Header=BB11_24 Depth=1
	v_lshlrev_b32_e32 v1, 3, v29
	v_lshlrev_b32_e32 v2, 3, v28
	;; [unrolled: 1-line block ×5, first 2 shown]
	s_barrier
	buffer_gl0_inv
	ds_store_b64 v1, v[21:22]
	ds_store_b64 v2, v[15:16]
	;; [unrolled: 1-line block ×5, first 2 shown]
	s_waitcnt lgkmcnt(0)
	s_barrier
	buffer_gl0_inv
	ds_load_2addr_b64 v[1:4], v34 offset1:1
	ds_load_2addr_b64 v[5:8], v34 offset0:2 offset1:3
	ds_load_b64 v[19:20], v34 offset:32
	s_add_u32 s20, s20, 4
	s_addc_u32 s21, s21, 0
	s_waitcnt lgkmcnt(0)
	s_barrier
	buffer_gl0_inv
	s_cbranch_execz .LBB11_41
.LBB11_24:                              ; =>This Inner Loop Header: Depth=1
	v_dual_mov_b32 v9, v19 :: v_dual_mov_b32 v10, v20
	v_dual_mov_b32 v12, v8 :: v_dual_mov_b32 v11, v7
	;; [unrolled: 1-line block ×5, first 2 shown]
	s_and_saveexec_b32 s22, s0
	s_cbranch_execz .LBB11_33
; %bb.25:                               ;   in Loop: Header=BB11_24 Depth=1
	ds_store_b32 v23, v24
	s_and_b32 exec_lo, exec_lo, s11
	s_cbranch_execz .LBB11_33
; %bb.26:                               ;   in Loop: Header=BB11_24 Depth=1
	ds_store_b32 v23, v24 offset:132
	s_and_b32 exec_lo, exec_lo, s12
	s_cbranch_execz .LBB11_33
; %bb.27:                               ;   in Loop: Header=BB11_24 Depth=1
	ds_store_b32 v23, v24 offset:264
	;; [unrolled: 4-line block ×7, first 2 shown]
.LBB11_33:                              ;   in Loop: Header=BB11_24 Depth=1
	s_or_b32 exec_lo, exec_lo, s22
	s_delay_alu instid0(VALU_DEP_1) | instskip(SKIP_3) | instid1(VALU_DEP_2)
	v_cmp_ne_u64_e32 vcc_lo, s[18:19], v[21:22]
	v_cndmask_b32_e32 v2, 0x80000000, v22, vcc_lo
	v_cndmask_b32_e32 v1, 0, v21, vcc_lo
	v_cmp_ne_u64_e32 vcc_lo, s[18:19], v[15:16]
	v_lshrrev_b64 v[1:2], s20, v[1:2]
	s_delay_alu instid0(VALU_DEP_1) | instskip(SKIP_1) | instid1(VALU_DEP_2)
	v_and_b32_e32 v2, 7, v1
	v_lshrrev_b32_e32 v1, 2, v1
	v_mad_u32_u24 v2, v2, 33, v0
	s_delay_alu instid0(VALU_DEP_2) | instskip(NEXT) | instid1(VALU_DEP_1)
	v_and_b32_e32 v1, 2, v1
	v_lshl_or_b32 v20, v2, 2, v1
	v_cndmask_b32_e32 v1, 0, v15, vcc_lo
	v_cndmask_b32_e32 v2, 0x80000000, v16, vcc_lo
	v_cmp_ne_u64_e32 vcc_lo, s[18:19], v[13:14]
	ds_load_u16 v19, v20
	v_lshrrev_b64 v[1:2], s20, v[1:2]
	s_delay_alu instid0(VALU_DEP_1) | instskip(SKIP_1) | instid1(VALU_DEP_2)
	v_and_b32_e32 v2, 7, v1
	v_lshrrev_b32_e32 v1, 2, v1
	v_mad_u32_u24 v2, v2, 33, v0
	s_delay_alu instid0(VALU_DEP_2) | instskip(NEXT) | instid1(VALU_DEP_1)
	v_and_b32_e32 v1, 2, v1
	v_lshl_or_b32 v26, v2, 2, v1
	s_waitcnt lgkmcnt(0)
	v_add_nc_u16 v3, v19, 1
	v_cndmask_b32_e32 v2, 0x80000000, v14, vcc_lo
	v_cndmask_b32_e32 v1, 0, v13, vcc_lo
	v_cmp_ne_u64_e32 vcc_lo, s[18:19], v[11:12]
	ds_store_b16 v20, v3
	ds_load_u16 v25, v26
	v_lshrrev_b64 v[1:2], s20, v[1:2]
	s_delay_alu instid0(VALU_DEP_1) | instskip(SKIP_1) | instid1(VALU_DEP_2)
	v_and_b32_e32 v2, 7, v1
	v_lshrrev_b32_e32 v1, 2, v1
	v_mad_u32_u24 v2, v2, 33, v0
	s_delay_alu instid0(VALU_DEP_2) | instskip(NEXT) | instid1(VALU_DEP_1)
	v_and_b32_e32 v1, 2, v1
	v_lshl_or_b32 v28, v2, 2, v1
	v_cndmask_b32_e32 v2, 0x80000000, v12, vcc_lo
	s_waitcnt lgkmcnt(0)
	v_add_nc_u16 v3, v25, 1
	v_cndmask_b32_e32 v1, 0, v11, vcc_lo
	v_cmp_ne_u64_e32 vcc_lo, s[18:19], v[9:10]
	ds_store_b16 v26, v3
	ds_load_u16 v27, v28
	v_lshrrev_b64 v[1:2], s20, v[1:2]
	s_delay_alu instid0(VALU_DEP_1) | instskip(SKIP_1) | instid1(VALU_DEP_2)
	v_and_b32_e32 v2, 7, v1
	v_lshrrev_b32_e32 v1, 2, v1
	v_mad_u32_u24 v2, v2, 33, v0
	s_delay_alu instid0(VALU_DEP_2) | instskip(NEXT) | instid1(VALU_DEP_1)
	v_and_b32_e32 v1, 2, v1
	v_lshl_or_b32 v30, v2, 2, v1
	v_cndmask_b32_e32 v2, 0x80000000, v10, vcc_lo
	s_waitcnt lgkmcnt(0)
	v_add_nc_u16 v3, v27, 1
	v_cndmask_b32_e32 v1, 0, v9, vcc_lo
	ds_store_b16 v28, v3
	ds_load_u16 v29, v30
	v_lshrrev_b64 v[1:2], s20, v[1:2]
	s_delay_alu instid0(VALU_DEP_1) | instskip(SKIP_1) | instid1(VALU_DEP_2)
	v_and_b32_e32 v2, 7, v1
	v_lshrrev_b32_e32 v1, 2, v1
	v_mad_u32_u24 v2, v2, 33, v0
	s_delay_alu instid0(VALU_DEP_2) | instskip(NEXT) | instid1(VALU_DEP_1)
	v_and_b32_e32 v1, 2, v1
	v_lshl_or_b32 v32, v2, 2, v1
	s_waitcnt lgkmcnt(0)
	v_add_nc_u16 v3, v29, 1
	ds_store_b16 v30, v3
	ds_load_u16 v31, v32
	s_waitcnt lgkmcnt(0)
	v_add_nc_u16 v1, v31, 1
	ds_store_b16 v32, v1
	s_waitcnt lgkmcnt(0)
	s_barrier
	buffer_gl0_inv
	ds_load_2addr_b64 v[5:8], v33 offset1:1
	ds_load_2addr_b64 v[1:4], v33 offset0:2 offset1:3
	s_waitcnt lgkmcnt(1)
	v_add_nc_u32_e32 v38, v6, v5
	s_delay_alu instid0(VALU_DEP_1) | instskip(SKIP_1) | instid1(VALU_DEP_1)
	v_add3_u32 v38, v38, v7, v8
	s_waitcnt lgkmcnt(0)
	v_add3_u32 v38, v38, v1, v2
	s_delay_alu instid0(VALU_DEP_1) | instskip(NEXT) | instid1(VALU_DEP_1)
	v_add3_u32 v4, v38, v3, v4
	v_mov_b32_dpp v38, v4 row_shr:1 row_mask:0xf bank_mask:0xf
	s_delay_alu instid0(VALU_DEP_1) | instskip(NEXT) | instid1(VALU_DEP_1)
	v_cndmask_b32_e64 v38, v38, 0, s4
	v_add_nc_u32_e32 v4, v38, v4
	s_delay_alu instid0(VALU_DEP_1) | instskip(NEXT) | instid1(VALU_DEP_1)
	v_mov_b32_dpp v38, v4 row_shr:2 row_mask:0xf bank_mask:0xf
	v_cndmask_b32_e64 v38, 0, v38, s5
	s_delay_alu instid0(VALU_DEP_1) | instskip(NEXT) | instid1(VALU_DEP_1)
	v_add_nc_u32_e32 v4, v4, v38
	v_mov_b32_dpp v38, v4 row_shr:4 row_mask:0xf bank_mask:0xf
	s_delay_alu instid0(VALU_DEP_1) | instskip(NEXT) | instid1(VALU_DEP_1)
	v_cndmask_b32_e64 v38, 0, v38, s6
	v_add_nc_u32_e32 v4, v4, v38
	s_delay_alu instid0(VALU_DEP_1) | instskip(NEXT) | instid1(VALU_DEP_1)
	v_mov_b32_dpp v38, v4 row_shr:8 row_mask:0xf bank_mask:0xf
	v_cndmask_b32_e64 v38, 0, v38, s7
	s_delay_alu instid0(VALU_DEP_1) | instskip(SKIP_3) | instid1(VALU_DEP_1)
	v_add_nc_u32_e32 v4, v4, v38
	ds_swizzle_b32 v38, v4 offset:swizzle(BROADCAST,32,15)
	s_waitcnt lgkmcnt(0)
	v_cndmask_b32_e64 v38, v38, 0, s8
	v_add_nc_u32_e32 v4, v4, v38
	s_and_saveexec_b32 s22, s9
	s_cbranch_execz .LBB11_35
; %bb.34:                               ;   in Loop: Header=BB11_24 Depth=1
	ds_store_b32 v35, v4 offset:1056
.LBB11_35:                              ;   in Loop: Header=BB11_24 Depth=1
	s_or_b32 exec_lo, exec_lo, s22
	s_waitcnt lgkmcnt(0)
	s_barrier
	buffer_gl0_inv
	s_and_saveexec_b32 s22, s2
	s_cbranch_execz .LBB11_37
; %bb.36:                               ;   in Loop: Header=BB11_24 Depth=1
	ds_load_b32 v38, v36 offset:1056
	s_waitcnt lgkmcnt(0)
	v_mov_b32_dpp v39, v38 row_shr:1 row_mask:0xf bank_mask:0xf
	s_delay_alu instid0(VALU_DEP_1) | instskip(NEXT) | instid1(VALU_DEP_1)
	v_cndmask_b32_e64 v39, v39, 0, s10
	v_add_nc_u32_e32 v38, v39, v38
	ds_store_b32 v36, v38 offset:1056
.LBB11_37:                              ;   in Loop: Header=BB11_24 Depth=1
	s_or_b32 exec_lo, exec_lo, s22
	v_mov_b32_e32 v38, 0
	s_waitcnt lgkmcnt(0)
	s_barrier
	buffer_gl0_inv
	s_and_saveexec_b32 s22, s1
	s_cbranch_execz .LBB11_39
; %bb.38:                               ;   in Loop: Header=BB11_24 Depth=1
	ds_load_b32 v38, v35 offset:1052
.LBB11_39:                              ;   in Loop: Header=BB11_24 Depth=1
	s_or_b32 exec_lo, exec_lo, s22
	s_waitcnt lgkmcnt(0)
	v_add_nc_u32_e32 v4, v38, v4
	ds_load_b32 v39, v24 offset:1060
	s_cmp_gt_u32 s20, 59
	ds_bpermute_b32 v4, v37, v4
	s_waitcnt lgkmcnt(0)
	v_cndmask_b32_e64 v4, v4, v38, s3
	s_delay_alu instid0(VALU_DEP_1) | instskip(NEXT) | instid1(VALU_DEP_1)
	v_lshl_add_u32 v4, v39, 16, v4
	v_add_nc_u32_e32 v5, v4, v5
	s_delay_alu instid0(VALU_DEP_1) | instskip(NEXT) | instid1(VALU_DEP_1)
	v_add_nc_u32_e32 v6, v5, v6
	v_add_nc_u32_e32 v7, v6, v7
	s_delay_alu instid0(VALU_DEP_1) | instskip(SKIP_1) | instid1(VALU_DEP_2)
	v_add_nc_u32_e32 v38, v7, v8
	v_and_b32_e32 v8, 0xffff, v27
	v_add_nc_u32_e32 v39, v38, v1
	s_delay_alu instid0(VALU_DEP_1) | instskip(NEXT) | instid1(VALU_DEP_1)
	v_add_nc_u32_e32 v1, v39, v2
	v_add_nc_u32_e32 v2, v1, v3
	ds_store_2addr_b64 v33, v[4:5], v[6:7] offset1:1
	ds_store_2addr_b64 v33, v[38:39], v[1:2] offset0:2 offset1:3
	s_waitcnt lgkmcnt(0)
	s_barrier
	buffer_gl0_inv
	ds_load_u16 v1, v20
	ds_load_u16 v2, v26
	;; [unrolled: 1-line block ×5, first 2 shown]
	v_and_b32_e32 v6, 0xffff, v19
	v_and_b32_e32 v7, 0xffff, v25
	;; [unrolled: 1-line block ×4, first 2 shown]
	s_waitcnt lgkmcnt(4)
	v_add_nc_u32_e32 v29, v1, v6
	s_waitcnt lgkmcnt(3)
	v_add_nc_u32_e32 v28, v2, v7
	;; [unrolled: 2-line block ×5, first 2 shown]
	s_cbranch_scc0 .LBB11_23
; %bb.40:
                                        ; implicit-def: $vgpr19_vgpr20
                                        ; implicit-def: $vgpr7_vgpr8
                                        ; implicit-def: $vgpr3_vgpr4
                                        ; implicit-def: $sgpr20_sgpr21
.LBB11_41:
	v_lshlrev_b32_e32 v0, 3, v29
	v_lshlrev_b32_e32 v1, 3, v28
	;; [unrolled: 1-line block ×5, first 2 shown]
	s_barrier
	buffer_gl0_inv
	ds_store_b64 v0, v[21:22]
	ds_store_b64 v1, v[15:16]
	;; [unrolled: 1-line block ×5, first 2 shown]
	s_waitcnt lgkmcnt(0)
	s_barrier
.LBB11_42:
	buffer_gl0_inv
	ds_load_2addr_b64 v[0:3], v34 offset1:1
	ds_load_2addr_b64 v[4:7], v34 offset0:2 offset1:3
	ds_load_b64 v[8:9], v34 offset:32
	s_waitcnt lgkmcnt(2)
	v_cmp_lt_i64_e32 vcc_lo, -1, v[0:1]
	v_ashrrev_i32_e32 v11, 31, v1
	v_ashrrev_i32_e32 v13, 31, v3
	s_waitcnt lgkmcnt(1)
	v_ashrrev_i32_e32 v15, 31, v5
	v_ashrrev_i32_e32 v19, 31, v7
	s_waitcnt lgkmcnt(0)
	v_ashrrev_i32_e32 v21, 31, v9
	v_cndmask_b32_e64 v10, 0x80000000, -1, vcc_lo
	v_cmp_lt_i64_e32 vcc_lo, -1, v[2:3]
	v_not_b32_e32 v11, v11
	s_delay_alu instid0(VALU_DEP_3)
	v_xor_b32_e32 v1, v10, v1
	v_not_b32_e32 v10, v13
	v_cndmask_b32_e64 v12, 0x80000000, -1, vcc_lo
	v_cmp_lt_i64_e32 vcc_lo, -1, v[4:5]
	v_not_b32_e32 v13, v19
	v_xor_b32_e32 v0, v11, v0
	v_xor_b32_e32 v2, v10, v2
	v_xor_b32_e32 v3, v12, v3
	v_not_b32_e32 v12, v15
	v_cndmask_b32_e64 v14, 0x80000000, -1, vcc_lo
	v_cmp_lt_i64_e32 vcc_lo, -1, v[6:7]
	v_xor_b32_e32 v6, v13, v6
	s_delay_alu instid0(VALU_DEP_4) | instskip(NEXT) | instid1(VALU_DEP_4)
	v_xor_b32_e32 v4, v12, v4
	v_xor_b32_e32 v5, v14, v5
	v_not_b32_e32 v14, v21
	v_cndmask_b32_e64 v16, 0x80000000, -1, vcc_lo
	v_cmp_lt_i64_e32 vcc_lo, -1, v[8:9]
	s_delay_alu instid0(VALU_DEP_3) | instskip(NEXT) | instid1(VALU_DEP_3)
	v_xor_b32_e32 v8, v14, v8
	v_xor_b32_e32 v7, v16, v7
	v_cndmask_b32_e64 v20, 0x80000000, -1, vcc_lo
	s_delay_alu instid0(VALU_DEP_1)
	v_xor_b32_e32 v9, v20, v9
	s_clause 0x2
	global_store_b128 v[17:18], v[0:3], off
	global_store_b128 v[17:18], v[4:7], off offset:16
	global_store_b64 v[17:18], v[8:9], off offset:32
	s_nop 0
	s_sendmsg sendmsg(MSG_DEALLOC_VGPRS)
	s_endpgm
	.section	.rodata,"a",@progbits
	.p2align	6, 0x0
	.amdhsa_kernel _Z15sort_key_kernelILj33ELj5ELb0ELb0EdEvPT3_jj
		.amdhsa_group_segment_fixed_size 1328
		.amdhsa_private_segment_fixed_size 0
		.amdhsa_kernarg_size 16
		.amdhsa_user_sgpr_count 15
		.amdhsa_user_sgpr_dispatch_ptr 0
		.amdhsa_user_sgpr_queue_ptr 0
		.amdhsa_user_sgpr_kernarg_segment_ptr 1
		.amdhsa_user_sgpr_dispatch_id 0
		.amdhsa_user_sgpr_private_segment_size 0
		.amdhsa_wavefront_size32 1
		.amdhsa_uses_dynamic_stack 0
		.amdhsa_enable_private_segment 0
		.amdhsa_system_sgpr_workgroup_id_x 1
		.amdhsa_system_sgpr_workgroup_id_y 0
		.amdhsa_system_sgpr_workgroup_id_z 0
		.amdhsa_system_sgpr_workgroup_info 0
		.amdhsa_system_vgpr_workitem_id 0
		.amdhsa_next_free_vgpr 50
		.amdhsa_next_free_sgpr 24
		.amdhsa_reserve_vcc 1
		.amdhsa_float_round_mode_32 0
		.amdhsa_float_round_mode_16_64 0
		.amdhsa_float_denorm_mode_32 3
		.amdhsa_float_denorm_mode_16_64 3
		.amdhsa_dx10_clamp 1
		.amdhsa_ieee_mode 1
		.amdhsa_fp16_overflow 0
		.amdhsa_workgroup_processor_mode 1
		.amdhsa_memory_ordered 1
		.amdhsa_forward_progress 0
		.amdhsa_shared_vgpr_count 0
		.amdhsa_exception_fp_ieee_invalid_op 0
		.amdhsa_exception_fp_denorm_src 0
		.amdhsa_exception_fp_ieee_div_zero 0
		.amdhsa_exception_fp_ieee_overflow 0
		.amdhsa_exception_fp_ieee_underflow 0
		.amdhsa_exception_fp_ieee_inexact 0
		.amdhsa_exception_int_div_zero 0
	.end_amdhsa_kernel
	.section	.text._Z15sort_key_kernelILj33ELj5ELb0ELb0EdEvPT3_jj,"axG",@progbits,_Z15sort_key_kernelILj33ELj5ELb0ELb0EdEvPT3_jj,comdat
.Lfunc_end11:
	.size	_Z15sort_key_kernelILj33ELj5ELb0ELb0EdEvPT3_jj, .Lfunc_end11-_Z15sort_key_kernelILj33ELj5ELb0ELb0EdEvPT3_jj
                                        ; -- End function
	.section	.AMDGPU.csdata,"",@progbits
; Kernel info:
; codeLenInByte = 3896
; NumSgprs: 26
; NumVgprs: 50
; ScratchSize: 0
; MemoryBound: 0
; FloatMode: 240
; IeeeMode: 1
; LDSByteSize: 1328 bytes/workgroup (compile time only)
; SGPRBlocks: 3
; VGPRBlocks: 6
; NumSGPRsForWavesPerEU: 26
; NumVGPRsForWavesPerEU: 50
; Occupancy: 16
; WaveLimiterHint : 0
; COMPUTE_PGM_RSRC2:SCRATCH_EN: 0
; COMPUTE_PGM_RSRC2:USER_SGPR: 15
; COMPUTE_PGM_RSRC2:TRAP_HANDLER: 0
; COMPUTE_PGM_RSRC2:TGID_X_EN: 1
; COMPUTE_PGM_RSRC2:TGID_Y_EN: 0
; COMPUTE_PGM_RSRC2:TGID_Z_EN: 0
; COMPUTE_PGM_RSRC2:TIDIG_COMP_CNT: 0
	.section	.text._Z15sort_key_kernelILj256ELj7ELb0ELb0EtEvPT3_jj,"axG",@progbits,_Z15sort_key_kernelILj256ELj7ELb0ELb0EtEvPT3_jj,comdat
	.protected	_Z15sort_key_kernelILj256ELj7ELb0ELb0EtEvPT3_jj ; -- Begin function _Z15sort_key_kernelILj256ELj7ELb0ELb0EtEvPT3_jj
	.globl	_Z15sort_key_kernelILj256ELj7ELb0ELb0EtEvPT3_jj
	.p2align	8
	.type	_Z15sort_key_kernelILj256ELj7ELb0ELb0EtEvPT3_jj,@function
_Z15sort_key_kernelILj256ELj7ELb0ELb0EtEvPT3_jj: ; @_Z15sort_key_kernelILj256ELj7ELb0ELb0EtEvPT3_jj
; %bb.0:
	s_load_b128 s[16:19], s[0:1], 0x0
	v_and_b32_e32 v10, 0x3ff, v0
	s_mov_b32 s21, 0
	s_mul_i32 s20, s15, 0x700
	v_bfe_u32 v25, v0, 10, 10
	s_lshl_b64 s[2:3], s[20:21], 1
	v_mul_u32_u24_e32 v1, 7, v10
	v_bfe_u32 v26, v0, 20, 10
	v_lshrrev_b32_e32 v0, 5, v10
	v_mbcnt_lo_u32_b32 v18, -1, 0
	v_lshlrev_b32_e32 v16, 5, v10
	v_lshlrev_b32_e32 v15, 1, v1
	v_and_b32_e32 v20, 0x3e0, v10
	v_mul_u32_u24_e32 v5, 0xe0, v0
	v_lshlrev_b32_e32 v17, 2, v0
	v_and_b32_e32 v24, 15, v18
	v_and_b32_e32 v23, 16, v18
	v_add_nc_u32_e32 v19, -1, v18
	v_lshlrev_b32_e32 v0, 1, v5
	v_or_b32_e32 v5, v18, v5
	s_waitcnt lgkmcnt(0)
	s_add_u32 s8, s16, s2
	s_addc_u32 s9, s17, s3
	s_cmp_lg_u32 s18, 0
	s_clause 0x1
	global_load_b96 v[1:3], v15, s[8:9]
	global_load_u16 v4, v15, s[8:9] offset:12
	s_cselect_b32 s7, -1, 0
	s_cmp_lg_u32 s19, 16
	v_add_co_u32 v8, s8, s8, v15
	s_cselect_b32 s10, -1, 0
	v_cmp_eq_u32_e64 s2, 0, v18
	v_and_b32_e32 v21, 7, v18
	v_cmp_gt_u32_e64 s3, 8, v10
	v_cmp_lt_u32_e64 s4, 31, v10
	v_cmp_eq_u32_e64 s5, 0, v10
	v_mul_i32_i24_e32 v22, 0xffffffe4, v10
	v_mad_u32_u24 v0, v18, 14, v0
	v_add_co_ci_u32_e64 v9, null, s9, 0, s8
	v_lshlrev_b32_e32 v27, 1, v5
	s_or_b32 s7, s7, s10
	s_mov_b32 s6, -1
	s_and_b32 vcc_lo, exec_lo, s7
	s_waitcnt vmcnt(1)
	ds_store_b96 v0, v[1:3]
	s_waitcnt vmcnt(0)
	ds_store_b16 v0, v4 offset:12
	s_cbranch_vccz .LBB12_26
; %bb.1:
	; wave barrier
	ds_load_u16 v28, v27
	ds_load_u16 v0, v27 offset:128
	ds_load_u16 v1, v27 offset:256
	;; [unrolled: 1-line block ×3, first 2 shown]
	v_min_u32_e32 v5, 0xe0, v20
	v_cmp_gt_i32_e32 vcc_lo, 0, v19
	v_mul_u32_u24_e32 v7, 7, v20
	v_add_nc_u32_e32 v29, 32, v16
	s_mov_b32 s20, s21
	v_add_nc_u32_e32 v30, -4, v17
	v_cndmask_b32_e32 v6, v19, v18, vcc_lo
	s_mov_b32 s15, s21
	v_cmp_eq_u32_e64 s6, 0, v24
	v_cmp_lt_u32_e64 s7, 1, v24
	v_cmp_lt_u32_e64 s8, 3, v24
	;; [unrolled: 1-line block ×3, first 2 shown]
	v_cmp_eq_u32_e64 s10, 0, v23
	v_cmp_eq_u32_e64 s11, 0, v21
	v_cmp_lt_u32_e64 s12, 1, v21
	v_cmp_lt_u32_e64 s13, 3, v21
	v_add_nc_u32_e32 v34, v16, v22
	s_waitcnt lgkmcnt(3)
	ds_load_u16_d16_hi v28, v27 offset:64
	s_waitcnt lgkmcnt(3)
	ds_load_u16_d16_hi v0, v27 offset:192
	s_waitcnt lgkmcnt(3)
	ds_load_u16_d16_hi v1, v27 offset:320
	s_waitcnt lgkmcnt(0)
	s_barrier
	buffer_gl0_inv
	; wave barrier
	s_barrier
	buffer_gl0_inv
	s_load_b32 s16, s[0:1], 0x1c
	v_lshlrev_b32_e32 v31, 2, v6
	s_waitcnt lgkmcnt(0)
	s_lshr_b32 s14, s16, 16
	s_and_b32 s16, s16, 0xffff
	v_mad_u32_u24 v11, v26, s14, v25
	s_mov_b32 s14, s21
	s_delay_alu instid0(SALU_CYCLE_1) | instskip(NEXT) | instid1(VALU_DEP_2)
	v_dual_mov_b32 v13, s14 :: v_dual_mov_b32 v14, s15
	v_mad_u64_u32 v[3:4], null, v11, s16, v[10:11]
	v_or_b32_e32 v4, 31, v5
	v_or_b32_e32 v5, v18, v7
	v_dual_mov_b32 v11, s20 :: v_dual_mov_b32 v12, s21
	s_sub_i32 s16, s19, s18
	s_delay_alu instid0(VALU_DEP_3) | instskip(NEXT) | instid1(VALU_DEP_3)
	v_cmp_eq_u32_e64 s14, v4, v10
	v_lshlrev_b32_e32 v32, 1, v5
	v_lshrrev_b32_e32 v33, 5, v3
	s_branch .LBB12_3
.LBB12_2:                               ;   in Loop: Header=BB12_3 Depth=1
	s_barrier
	buffer_gl0_inv
	ds_store_b16 v4, v28
	ds_store_b16 v5, v38
	;; [unrolled: 1-line block ×7, first 2 shown]
	s_waitcnt lgkmcnt(0)
	s_barrier
	buffer_gl0_inv
	ds_load_u16 v28, v32
	ds_load_u16 v0, v32 offset:128
	ds_load_u16 v1, v32 offset:256
	;; [unrolled: 1-line block ×3, first 2 shown]
	s_add_i32 s16, s16, -8
	s_waitcnt lgkmcnt(3)
	ds_load_u16_d16_hi v28, v32 offset:64
	s_waitcnt lgkmcnt(3)
	ds_load_u16_d16_hi v0, v32 offset:192
	;; [unrolled: 2-line block ×3, first 2 shown]
	s_waitcnt lgkmcnt(0)
	s_barrier
	buffer_gl0_inv
	s_cbranch_execz .LBB12_25
.LBB12_3:                               ; =>This Inner Loop Header: Depth=1
	v_and_b32_e32 v3, 0xffff, v28
	s_min_u32 s15, s16, 8
	ds_store_2addr_b64 v16, v[11:12], v[13:14] offset0:4 offset1:5
	ds_store_2addr_b64 v29, v[11:12], v[13:14] offset0:2 offset1:3
	s_lshl_b32 s15, -1, s15
	s_waitcnt lgkmcnt(0)
	v_lshrrev_b32_e32 v3, s18, v3
	s_not_b32 s17, s15
	s_barrier
	buffer_gl0_inv
	v_and_b32_e32 v4, s17, v3
	; wave barrier
	s_delay_alu instid0(VALU_DEP_1)
	v_and_b32_e32 v3, 1, v4
	v_lshlrev_b32_e32 v5, 30, v4
	v_lshlrev_b32_e32 v6, 29, v4
	;; [unrolled: 1-line block ×4, first 2 shown]
	v_add_co_u32 v3, s15, v3, -1
	s_delay_alu instid0(VALU_DEP_1)
	v_cndmask_b32_e64 v35, 0, 1, s15
	v_not_b32_e32 v39, v5
	v_cmp_gt_i32_e64 s15, 0, v5
	v_not_b32_e32 v5, v6
	v_lshlrev_b32_e32 v37, 26, v4
	v_cmp_ne_u32_e32 vcc_lo, 0, v35
	v_ashrrev_i32_e32 v39, 31, v39
	v_lshlrev_b32_e32 v35, 24, v4
	v_ashrrev_i32_e32 v5, 31, v5
	v_xor_b32_e32 v3, vcc_lo, v3
	v_cmp_gt_i32_e32 vcc_lo, 0, v6
	v_not_b32_e32 v6, v7
	v_xor_b32_e32 v39, s15, v39
	v_cmp_gt_i32_e64 s15, 0, v7
	v_and_b32_e32 v3, exec_lo, v3
	v_not_b32_e32 v7, v36
	v_ashrrev_i32_e32 v6, 31, v6
	v_xor_b32_e32 v5, vcc_lo, v5
	v_cmp_gt_i32_e32 vcc_lo, 0, v36
	v_and_b32_e32 v3, v3, v39
	v_not_b32_e32 v36, v37
	v_xor_b32_e32 v6, s15, v6
	v_cmp_gt_i32_e64 s15, 0, v37
	v_mov_b32_e32 v37, v0
	v_and_b32_e32 v3, v3, v5
	v_ashrrev_i32_e32 v36, 31, v36
	v_ashrrev_i32_e32 v7, 31, v7
	s_delay_alu instid0(VALU_DEP_3) | instskip(SKIP_1) | instid1(VALU_DEP_4)
	v_and_b32_e32 v3, v3, v6
	v_not_b32_e32 v6, v35
	v_xor_b32_e32 v36, s15, v36
	v_cmp_gt_i32_e64 s15, 0, v35
	v_dual_mov_b32 v35, v2 :: v_dual_lshlrev_b32 v38, 25, v4
	v_xor_b32_e32 v7, vcc_lo, v7
	v_ashrrev_i32_e32 v6, 31, v6
	v_lshl_add_u32 v0, v4, 3, v33
	s_delay_alu instid0(VALU_DEP_4)
	v_not_b32_e32 v5, v38
	v_cmp_gt_i32_e32 vcc_lo, 0, v38
	v_and_b32_e32 v3, v3, v7
	v_xor_b32_e32 v6, s15, v6
	v_lshl_add_u32 v40, v0, 2, 32
	v_ashrrev_i32_e32 v5, 31, v5
	s_delay_alu instid0(VALU_DEP_4) | instskip(NEXT) | instid1(VALU_DEP_2)
	v_dual_mov_b32 v36, v1 :: v_dual_and_b32 v3, v3, v36
	v_xor_b32_e32 v5, vcc_lo, v5
	s_delay_alu instid0(VALU_DEP_1) | instskip(NEXT) | instid1(VALU_DEP_1)
	v_and_b32_e32 v3, v3, v5
	v_and_b32_e32 v3, v3, v6
	s_delay_alu instid0(VALU_DEP_1) | instskip(SKIP_1) | instid1(VALU_DEP_2)
	v_mbcnt_lo_u32_b32 v39, v3, 0
	v_cmp_ne_u32_e64 s15, 0, v3
	v_cmp_eq_u32_e32 vcc_lo, 0, v39
	s_delay_alu instid0(VALU_DEP_2) | instskip(NEXT) | instid1(SALU_CYCLE_1)
	s_and_b32 s20, s15, vcc_lo
	s_and_saveexec_b32 s15, s20
	s_cbranch_execz .LBB12_5
; %bb.4:                                ;   in Loop: Header=BB12_3 Depth=1
	v_bcnt_u32_b32 v0, v3, 0
	ds_store_b32 v40, v0
.LBB12_5:                               ;   in Loop: Header=BB12_3 Depth=1
	s_or_b32 exec_lo, exec_lo, s15
	v_lshrrev_b32_e32 v38, 16, v28
	; wave barrier
	s_delay_alu instid0(VALU_DEP_1) | instskip(NEXT) | instid1(VALU_DEP_1)
	v_lshrrev_b32_e32 v0, s18, v38
	v_and_b32_e32 v0, s17, v0
	s_delay_alu instid0(VALU_DEP_1)
	v_and_b32_e32 v1, 1, v0
	v_lshlrev_b32_e32 v2, 30, v0
	v_lshlrev_b32_e32 v3, 29, v0
	;; [unrolled: 1-line block ×4, first 2 shown]
	v_add_co_u32 v1, s15, v1, -1
	s_delay_alu instid0(VALU_DEP_1)
	v_cndmask_b32_e64 v5, 0, 1, s15
	v_not_b32_e32 v42, v2
	v_cmp_gt_i32_e64 s15, 0, v2
	v_not_b32_e32 v2, v3
	v_lshlrev_b32_e32 v7, 26, v0
	v_cmp_ne_u32_e32 vcc_lo, 0, v5
	v_ashrrev_i32_e32 v42, 31, v42
	v_lshlrev_b32_e32 v41, 25, v0
	v_ashrrev_i32_e32 v2, 31, v2
	v_lshlrev_b32_e32 v5, 24, v0
	v_xor_b32_e32 v1, vcc_lo, v1
	v_cmp_gt_i32_e32 vcc_lo, 0, v3
	v_not_b32_e32 v3, v4
	v_xor_b32_e32 v42, s15, v42
	v_cmp_gt_i32_e64 s15, 0, v4
	v_and_b32_e32 v1, exec_lo, v1
	v_not_b32_e32 v4, v6
	v_ashrrev_i32_e32 v3, 31, v3
	v_xor_b32_e32 v2, vcc_lo, v2
	v_cmp_gt_i32_e32 vcc_lo, 0, v6
	v_and_b32_e32 v1, v1, v42
	v_not_b32_e32 v6, v7
	v_ashrrev_i32_e32 v4, 31, v4
	v_xor_b32_e32 v3, s15, v3
	v_cmp_gt_i32_e64 s15, 0, v7
	v_and_b32_e32 v1, v1, v2
	v_not_b32_e32 v2, v41
	v_ashrrev_i32_e32 v6, 31, v6
	v_xor_b32_e32 v4, vcc_lo, v4
	v_cmp_gt_i32_e32 vcc_lo, 0, v41
	v_and_b32_e32 v1, v1, v3
	v_not_b32_e32 v3, v5
	v_ashrrev_i32_e32 v2, 31, v2
	v_xor_b32_e32 v6, s15, v6
	v_lshlrev_b32_e32 v0, 3, v0
	v_and_b32_e32 v1, v1, v4
	v_cmp_gt_i32_e64 s15, 0, v5
	v_ashrrev_i32_e32 v3, 31, v3
	v_xor_b32_e32 v2, vcc_lo, v2
	v_add_lshl_u32 v4, v0, v33, 2
	v_and_b32_e32 v1, v1, v6
	s_delay_alu instid0(VALU_DEP_4) | instskip(SKIP_3) | instid1(VALU_DEP_2)
	v_xor_b32_e32 v0, s15, v3
	ds_load_b32 v41, v4 offset:32
	v_and_b32_e32 v1, v1, v2
	v_add_nc_u32_e32 v43, 32, v4
	; wave barrier
	v_and_b32_e32 v0, v1, v0
	s_delay_alu instid0(VALU_DEP_1) | instskip(SKIP_1) | instid1(VALU_DEP_2)
	v_mbcnt_lo_u32_b32 v42, v0, 0
	v_cmp_ne_u32_e64 s15, 0, v0
	v_cmp_eq_u32_e32 vcc_lo, 0, v42
	s_delay_alu instid0(VALU_DEP_2) | instskip(NEXT) | instid1(SALU_CYCLE_1)
	s_and_b32 s20, s15, vcc_lo
	s_and_saveexec_b32 s15, s20
	s_cbranch_execz .LBB12_7
; %bb.6:                                ;   in Loop: Header=BB12_3 Depth=1
	s_waitcnt lgkmcnt(0)
	v_bcnt_u32_b32 v0, v0, v41
	ds_store_b32 v43, v0
.LBB12_7:                               ;   in Loop: Header=BB12_3 Depth=1
	s_or_b32 exec_lo, exec_lo, s15
	v_and_b32_e32 v0, 0xffff, v37
	; wave barrier
	s_delay_alu instid0(VALU_DEP_1) | instskip(NEXT) | instid1(VALU_DEP_1)
	v_lshrrev_b32_e32 v0, s18, v0
	v_and_b32_e32 v0, s17, v0
	s_delay_alu instid0(VALU_DEP_1)
	v_and_b32_e32 v1, 1, v0
	v_lshlrev_b32_e32 v2, 30, v0
	v_lshlrev_b32_e32 v3, 29, v0
	;; [unrolled: 1-line block ×4, first 2 shown]
	v_add_co_u32 v1, s15, v1, -1
	s_delay_alu instid0(VALU_DEP_1)
	v_cndmask_b32_e64 v5, 0, 1, s15
	v_not_b32_e32 v45, v2
	v_cmp_gt_i32_e64 s15, 0, v2
	v_not_b32_e32 v2, v3
	v_lshlrev_b32_e32 v7, 26, v0
	v_cmp_ne_u32_e32 vcc_lo, 0, v5
	v_ashrrev_i32_e32 v45, 31, v45
	v_lshlrev_b32_e32 v44, 25, v0
	v_ashrrev_i32_e32 v2, 31, v2
	v_lshlrev_b32_e32 v5, 24, v0
	v_xor_b32_e32 v1, vcc_lo, v1
	v_cmp_gt_i32_e32 vcc_lo, 0, v3
	v_not_b32_e32 v3, v4
	v_xor_b32_e32 v45, s15, v45
	v_cmp_gt_i32_e64 s15, 0, v4
	v_and_b32_e32 v1, exec_lo, v1
	v_not_b32_e32 v4, v6
	v_ashrrev_i32_e32 v3, 31, v3
	v_xor_b32_e32 v2, vcc_lo, v2
	v_cmp_gt_i32_e32 vcc_lo, 0, v6
	v_and_b32_e32 v1, v1, v45
	v_not_b32_e32 v6, v7
	v_ashrrev_i32_e32 v4, 31, v4
	v_xor_b32_e32 v3, s15, v3
	v_cmp_gt_i32_e64 s15, 0, v7
	v_and_b32_e32 v1, v1, v2
	v_not_b32_e32 v2, v44
	v_ashrrev_i32_e32 v6, 31, v6
	v_xor_b32_e32 v4, vcc_lo, v4
	v_cmp_gt_i32_e32 vcc_lo, 0, v44
	v_and_b32_e32 v1, v1, v3
	v_not_b32_e32 v3, v5
	v_ashrrev_i32_e32 v2, 31, v2
	v_xor_b32_e32 v6, s15, v6
	v_lshlrev_b32_e32 v0, 3, v0
	v_and_b32_e32 v1, v1, v4
	v_cmp_gt_i32_e64 s15, 0, v5
	v_ashrrev_i32_e32 v3, 31, v3
	v_xor_b32_e32 v2, vcc_lo, v2
	v_add_lshl_u32 v4, v0, v33, 2
	v_and_b32_e32 v1, v1, v6
	s_delay_alu instid0(VALU_DEP_4) | instskip(SKIP_3) | instid1(VALU_DEP_2)
	v_xor_b32_e32 v0, s15, v3
	ds_load_b32 v45, v4 offset:32
	v_and_b32_e32 v1, v1, v2
	v_add_nc_u32_e32 v47, 32, v4
	; wave barrier
	v_and_b32_e32 v0, v1, v0
	s_delay_alu instid0(VALU_DEP_1) | instskip(SKIP_1) | instid1(VALU_DEP_2)
	v_mbcnt_lo_u32_b32 v46, v0, 0
	v_cmp_ne_u32_e64 s15, 0, v0
	v_cmp_eq_u32_e32 vcc_lo, 0, v46
	s_delay_alu instid0(VALU_DEP_2) | instskip(NEXT) | instid1(SALU_CYCLE_1)
	s_and_b32 s20, s15, vcc_lo
	s_and_saveexec_b32 s15, s20
	s_cbranch_execz .LBB12_9
; %bb.8:                                ;   in Loop: Header=BB12_3 Depth=1
	s_waitcnt lgkmcnt(0)
	v_bcnt_u32_b32 v0, v0, v45
	ds_store_b32 v47, v0
.LBB12_9:                               ;   in Loop: Header=BB12_3 Depth=1
	s_or_b32 exec_lo, exec_lo, s15
	v_lshrrev_b32_e32 v44, 16, v37
	; wave barrier
	s_delay_alu instid0(VALU_DEP_1) | instskip(NEXT) | instid1(VALU_DEP_1)
	v_lshrrev_b32_e32 v0, s18, v44
	v_and_b32_e32 v0, s17, v0
	s_delay_alu instid0(VALU_DEP_1)
	v_and_b32_e32 v1, 1, v0
	v_lshlrev_b32_e32 v2, 30, v0
	v_lshlrev_b32_e32 v3, 29, v0
	;; [unrolled: 1-line block ×4, first 2 shown]
	v_add_co_u32 v1, s15, v1, -1
	s_delay_alu instid0(VALU_DEP_1)
	v_cndmask_b32_e64 v5, 0, 1, s15
	v_not_b32_e32 v49, v2
	v_cmp_gt_i32_e64 s15, 0, v2
	v_not_b32_e32 v2, v3
	v_lshlrev_b32_e32 v7, 26, v0
	v_cmp_ne_u32_e32 vcc_lo, 0, v5
	v_ashrrev_i32_e32 v49, 31, v49
	v_lshlrev_b32_e32 v48, 25, v0
	v_ashrrev_i32_e32 v2, 31, v2
	v_lshlrev_b32_e32 v5, 24, v0
	v_xor_b32_e32 v1, vcc_lo, v1
	v_cmp_gt_i32_e32 vcc_lo, 0, v3
	v_not_b32_e32 v3, v4
	v_xor_b32_e32 v49, s15, v49
	v_cmp_gt_i32_e64 s15, 0, v4
	v_and_b32_e32 v1, exec_lo, v1
	v_not_b32_e32 v4, v6
	v_ashrrev_i32_e32 v3, 31, v3
	v_xor_b32_e32 v2, vcc_lo, v2
	v_cmp_gt_i32_e32 vcc_lo, 0, v6
	v_and_b32_e32 v1, v1, v49
	v_not_b32_e32 v6, v7
	v_ashrrev_i32_e32 v4, 31, v4
	v_xor_b32_e32 v3, s15, v3
	v_cmp_gt_i32_e64 s15, 0, v7
	v_and_b32_e32 v1, v1, v2
	v_not_b32_e32 v2, v48
	v_ashrrev_i32_e32 v6, 31, v6
	v_xor_b32_e32 v4, vcc_lo, v4
	v_cmp_gt_i32_e32 vcc_lo, 0, v48
	v_and_b32_e32 v1, v1, v3
	v_not_b32_e32 v3, v5
	v_ashrrev_i32_e32 v2, 31, v2
	v_xor_b32_e32 v6, s15, v6
	v_lshlrev_b32_e32 v0, 3, v0
	v_and_b32_e32 v1, v1, v4
	v_cmp_gt_i32_e64 s15, 0, v5
	v_ashrrev_i32_e32 v3, 31, v3
	v_xor_b32_e32 v2, vcc_lo, v2
	v_add_lshl_u32 v4, v0, v33, 2
	v_and_b32_e32 v1, v1, v6
	s_delay_alu instid0(VALU_DEP_4) | instskip(SKIP_3) | instid1(VALU_DEP_2)
	v_xor_b32_e32 v0, s15, v3
	ds_load_b32 v48, v4 offset:32
	v_and_b32_e32 v1, v1, v2
	v_add_nc_u32_e32 v50, 32, v4
	; wave barrier
	v_and_b32_e32 v0, v1, v0
	s_delay_alu instid0(VALU_DEP_1) | instskip(SKIP_1) | instid1(VALU_DEP_2)
	v_mbcnt_lo_u32_b32 v49, v0, 0
	v_cmp_ne_u32_e64 s15, 0, v0
	v_cmp_eq_u32_e32 vcc_lo, 0, v49
	s_delay_alu instid0(VALU_DEP_2) | instskip(NEXT) | instid1(SALU_CYCLE_1)
	s_and_b32 s20, s15, vcc_lo
	s_and_saveexec_b32 s15, s20
	s_cbranch_execz .LBB12_11
; %bb.10:                               ;   in Loop: Header=BB12_3 Depth=1
	s_waitcnt lgkmcnt(0)
	v_bcnt_u32_b32 v0, v0, v48
	ds_store_b32 v50, v0
.LBB12_11:                              ;   in Loop: Header=BB12_3 Depth=1
	s_or_b32 exec_lo, exec_lo, s15
	v_and_b32_e32 v0, 0xffff, v36
	; wave barrier
	s_delay_alu instid0(VALU_DEP_1) | instskip(NEXT) | instid1(VALU_DEP_1)
	v_lshrrev_b32_e32 v0, s18, v0
	v_and_b32_e32 v0, s17, v0
	s_delay_alu instid0(VALU_DEP_1)
	v_and_b32_e32 v1, 1, v0
	v_lshlrev_b32_e32 v2, 30, v0
	v_lshlrev_b32_e32 v3, 29, v0
	;; [unrolled: 1-line block ×4, first 2 shown]
	v_add_co_u32 v1, s15, v1, -1
	s_delay_alu instid0(VALU_DEP_1)
	v_cndmask_b32_e64 v5, 0, 1, s15
	v_not_b32_e32 v52, v2
	v_cmp_gt_i32_e64 s15, 0, v2
	v_not_b32_e32 v2, v3
	v_lshlrev_b32_e32 v7, 26, v0
	v_cmp_ne_u32_e32 vcc_lo, 0, v5
	v_ashrrev_i32_e32 v52, 31, v52
	v_lshlrev_b32_e32 v51, 25, v0
	v_ashrrev_i32_e32 v2, 31, v2
	v_lshlrev_b32_e32 v5, 24, v0
	v_xor_b32_e32 v1, vcc_lo, v1
	v_cmp_gt_i32_e32 vcc_lo, 0, v3
	v_not_b32_e32 v3, v4
	v_xor_b32_e32 v52, s15, v52
	v_cmp_gt_i32_e64 s15, 0, v4
	v_and_b32_e32 v1, exec_lo, v1
	v_not_b32_e32 v4, v6
	v_ashrrev_i32_e32 v3, 31, v3
	v_xor_b32_e32 v2, vcc_lo, v2
	v_cmp_gt_i32_e32 vcc_lo, 0, v6
	v_and_b32_e32 v1, v1, v52
	v_not_b32_e32 v6, v7
	v_ashrrev_i32_e32 v4, 31, v4
	v_xor_b32_e32 v3, s15, v3
	v_cmp_gt_i32_e64 s15, 0, v7
	v_and_b32_e32 v1, v1, v2
	v_not_b32_e32 v2, v51
	v_ashrrev_i32_e32 v6, 31, v6
	v_xor_b32_e32 v4, vcc_lo, v4
	v_cmp_gt_i32_e32 vcc_lo, 0, v51
	v_and_b32_e32 v1, v1, v3
	v_not_b32_e32 v3, v5
	v_ashrrev_i32_e32 v2, 31, v2
	v_xor_b32_e32 v6, s15, v6
	v_lshlrev_b32_e32 v0, 3, v0
	v_and_b32_e32 v1, v1, v4
	v_cmp_gt_i32_e64 s15, 0, v5
	v_ashrrev_i32_e32 v3, 31, v3
	v_xor_b32_e32 v2, vcc_lo, v2
	v_add_lshl_u32 v4, v0, v33, 2
	v_and_b32_e32 v1, v1, v6
	s_delay_alu instid0(VALU_DEP_4) | instskip(SKIP_3) | instid1(VALU_DEP_2)
	v_xor_b32_e32 v0, s15, v3
	ds_load_b32 v52, v4 offset:32
	v_and_b32_e32 v1, v1, v2
	v_add_nc_u32_e32 v54, 32, v4
	; wave barrier
	v_and_b32_e32 v0, v1, v0
	s_delay_alu instid0(VALU_DEP_1) | instskip(SKIP_1) | instid1(VALU_DEP_2)
	v_mbcnt_lo_u32_b32 v53, v0, 0
	v_cmp_ne_u32_e64 s15, 0, v0
	v_cmp_eq_u32_e32 vcc_lo, 0, v53
	s_delay_alu instid0(VALU_DEP_2) | instskip(NEXT) | instid1(SALU_CYCLE_1)
	s_and_b32 s20, s15, vcc_lo
	s_and_saveexec_b32 s15, s20
	s_cbranch_execz .LBB12_13
; %bb.12:                               ;   in Loop: Header=BB12_3 Depth=1
	s_waitcnt lgkmcnt(0)
	v_bcnt_u32_b32 v0, v0, v52
	ds_store_b32 v54, v0
.LBB12_13:                              ;   in Loop: Header=BB12_3 Depth=1
	s_or_b32 exec_lo, exec_lo, s15
	v_lshrrev_b32_e32 v51, 16, v36
	; wave barrier
	s_delay_alu instid0(VALU_DEP_1) | instskip(NEXT) | instid1(VALU_DEP_1)
	v_lshrrev_b32_e32 v0, s18, v51
	v_and_b32_e32 v0, s17, v0
	s_delay_alu instid0(VALU_DEP_1)
	v_and_b32_e32 v1, 1, v0
	v_lshlrev_b32_e32 v2, 30, v0
	v_lshlrev_b32_e32 v3, 29, v0
	;; [unrolled: 1-line block ×4, first 2 shown]
	v_add_co_u32 v1, s15, v1, -1
	s_delay_alu instid0(VALU_DEP_1)
	v_cndmask_b32_e64 v5, 0, 1, s15
	v_not_b32_e32 v56, v2
	v_cmp_gt_i32_e64 s15, 0, v2
	v_not_b32_e32 v2, v3
	v_lshlrev_b32_e32 v7, 26, v0
	v_cmp_ne_u32_e32 vcc_lo, 0, v5
	v_ashrrev_i32_e32 v56, 31, v56
	v_lshlrev_b32_e32 v55, 25, v0
	v_ashrrev_i32_e32 v2, 31, v2
	v_lshlrev_b32_e32 v5, 24, v0
	v_xor_b32_e32 v1, vcc_lo, v1
	v_cmp_gt_i32_e32 vcc_lo, 0, v3
	v_not_b32_e32 v3, v4
	v_xor_b32_e32 v56, s15, v56
	v_cmp_gt_i32_e64 s15, 0, v4
	v_and_b32_e32 v1, exec_lo, v1
	v_not_b32_e32 v4, v6
	v_ashrrev_i32_e32 v3, 31, v3
	v_xor_b32_e32 v2, vcc_lo, v2
	v_cmp_gt_i32_e32 vcc_lo, 0, v6
	v_and_b32_e32 v1, v1, v56
	v_not_b32_e32 v6, v7
	v_ashrrev_i32_e32 v4, 31, v4
	v_xor_b32_e32 v3, s15, v3
	v_cmp_gt_i32_e64 s15, 0, v7
	v_and_b32_e32 v1, v1, v2
	v_not_b32_e32 v2, v55
	v_ashrrev_i32_e32 v6, 31, v6
	v_xor_b32_e32 v4, vcc_lo, v4
	v_cmp_gt_i32_e32 vcc_lo, 0, v55
	v_and_b32_e32 v1, v1, v3
	v_not_b32_e32 v3, v5
	v_ashrrev_i32_e32 v2, 31, v2
	v_xor_b32_e32 v6, s15, v6
	v_lshlrev_b32_e32 v0, 3, v0
	v_and_b32_e32 v1, v1, v4
	v_cmp_gt_i32_e64 s15, 0, v5
	v_ashrrev_i32_e32 v3, 31, v3
	v_xor_b32_e32 v2, vcc_lo, v2
	v_add_lshl_u32 v4, v0, v33, 2
	v_and_b32_e32 v1, v1, v6
	s_delay_alu instid0(VALU_DEP_4) | instskip(SKIP_3) | instid1(VALU_DEP_2)
	v_xor_b32_e32 v0, s15, v3
	ds_load_b32 v55, v4 offset:32
	v_and_b32_e32 v1, v1, v2
	v_add_nc_u32_e32 v57, 32, v4
	; wave barrier
	v_and_b32_e32 v0, v1, v0
	s_delay_alu instid0(VALU_DEP_1) | instskip(SKIP_1) | instid1(VALU_DEP_2)
	v_mbcnt_lo_u32_b32 v56, v0, 0
	v_cmp_ne_u32_e64 s15, 0, v0
	v_cmp_eq_u32_e32 vcc_lo, 0, v56
	s_delay_alu instid0(VALU_DEP_2) | instskip(NEXT) | instid1(SALU_CYCLE_1)
	s_and_b32 s20, s15, vcc_lo
	s_and_saveexec_b32 s15, s20
	s_cbranch_execz .LBB12_15
; %bb.14:                               ;   in Loop: Header=BB12_3 Depth=1
	s_waitcnt lgkmcnt(0)
	v_bcnt_u32_b32 v0, v0, v55
	ds_store_b32 v57, v0
.LBB12_15:                              ;   in Loop: Header=BB12_3 Depth=1
	s_or_b32 exec_lo, exec_lo, s15
	v_and_b32_e32 v0, 0xffff, v35
	; wave barrier
	s_delay_alu instid0(VALU_DEP_1) | instskip(NEXT) | instid1(VALU_DEP_1)
	v_lshrrev_b32_e32 v0, s18, v0
	v_and_b32_e32 v0, s17, v0
	s_delay_alu instid0(VALU_DEP_1)
	v_and_b32_e32 v1, 1, v0
	v_lshlrev_b32_e32 v2, 30, v0
	v_lshlrev_b32_e32 v3, 29, v0
	;; [unrolled: 1-line block ×4, first 2 shown]
	v_add_co_u32 v1, s15, v1, -1
	s_delay_alu instid0(VALU_DEP_1)
	v_cndmask_b32_e64 v5, 0, 1, s15
	v_not_b32_e32 v59, v2
	v_cmp_gt_i32_e64 s15, 0, v2
	v_not_b32_e32 v2, v3
	v_lshlrev_b32_e32 v7, 26, v0
	v_cmp_ne_u32_e32 vcc_lo, 0, v5
	v_ashrrev_i32_e32 v59, 31, v59
	v_lshlrev_b32_e32 v58, 25, v0
	v_ashrrev_i32_e32 v2, 31, v2
	v_lshlrev_b32_e32 v5, 24, v0
	v_xor_b32_e32 v1, vcc_lo, v1
	v_cmp_gt_i32_e32 vcc_lo, 0, v3
	v_not_b32_e32 v3, v4
	v_xor_b32_e32 v59, s15, v59
	v_cmp_gt_i32_e64 s15, 0, v4
	v_and_b32_e32 v1, exec_lo, v1
	v_not_b32_e32 v4, v6
	v_ashrrev_i32_e32 v3, 31, v3
	v_xor_b32_e32 v2, vcc_lo, v2
	v_cmp_gt_i32_e32 vcc_lo, 0, v6
	v_and_b32_e32 v1, v1, v59
	v_not_b32_e32 v6, v7
	v_ashrrev_i32_e32 v4, 31, v4
	v_xor_b32_e32 v3, s15, v3
	v_cmp_gt_i32_e64 s15, 0, v7
	v_and_b32_e32 v1, v1, v2
	v_not_b32_e32 v2, v58
	v_ashrrev_i32_e32 v6, 31, v6
	v_xor_b32_e32 v4, vcc_lo, v4
	v_cmp_gt_i32_e32 vcc_lo, 0, v58
	v_and_b32_e32 v1, v1, v3
	v_not_b32_e32 v3, v5
	v_ashrrev_i32_e32 v2, 31, v2
	v_xor_b32_e32 v6, s15, v6
	v_lshlrev_b32_e32 v0, 3, v0
	v_and_b32_e32 v1, v1, v4
	v_cmp_gt_i32_e64 s15, 0, v5
	v_ashrrev_i32_e32 v3, 31, v3
	v_xor_b32_e32 v2, vcc_lo, v2
	v_add_lshl_u32 v4, v0, v33, 2
	v_and_b32_e32 v1, v1, v6
	s_delay_alu instid0(VALU_DEP_4) | instskip(SKIP_3) | instid1(VALU_DEP_2)
	v_xor_b32_e32 v0, s15, v3
	ds_load_b32 v58, v4 offset:32
	v_and_b32_e32 v1, v1, v2
	v_add_nc_u32_e32 v60, 32, v4
	; wave barrier
	v_and_b32_e32 v0, v1, v0
	s_delay_alu instid0(VALU_DEP_1) | instskip(SKIP_1) | instid1(VALU_DEP_2)
	v_mbcnt_lo_u32_b32 v59, v0, 0
	v_cmp_ne_u32_e64 s15, 0, v0
	v_cmp_eq_u32_e32 vcc_lo, 0, v59
	s_delay_alu instid0(VALU_DEP_2) | instskip(NEXT) | instid1(SALU_CYCLE_1)
	s_and_b32 s17, s15, vcc_lo
	s_and_saveexec_b32 s15, s17
	s_cbranch_execz .LBB12_17
; %bb.16:                               ;   in Loop: Header=BB12_3 Depth=1
	s_waitcnt lgkmcnt(0)
	v_bcnt_u32_b32 v0, v0, v58
	ds_store_b32 v60, v0
.LBB12_17:                              ;   in Loop: Header=BB12_3 Depth=1
	s_or_b32 exec_lo, exec_lo, s15
	; wave barrier
	s_waitcnt lgkmcnt(0)
	s_barrier
	buffer_gl0_inv
	ds_load_2addr_b64 v[4:7], v16 offset0:4 offset1:5
	ds_load_2addr_b64 v[0:3], v29 offset0:2 offset1:3
	s_waitcnt lgkmcnt(1)
	v_add_nc_u32_e32 v61, v5, v4
	s_delay_alu instid0(VALU_DEP_1) | instskip(SKIP_1) | instid1(VALU_DEP_1)
	v_add3_u32 v61, v61, v6, v7
	s_waitcnt lgkmcnt(0)
	v_add3_u32 v61, v61, v0, v1
	s_delay_alu instid0(VALU_DEP_1) | instskip(NEXT) | instid1(VALU_DEP_1)
	v_add3_u32 v3, v61, v2, v3
	v_mov_b32_dpp v61, v3 row_shr:1 row_mask:0xf bank_mask:0xf
	s_delay_alu instid0(VALU_DEP_1) | instskip(NEXT) | instid1(VALU_DEP_1)
	v_cndmask_b32_e64 v61, v61, 0, s6
	v_add_nc_u32_e32 v3, v61, v3
	s_delay_alu instid0(VALU_DEP_1) | instskip(NEXT) | instid1(VALU_DEP_1)
	v_mov_b32_dpp v61, v3 row_shr:2 row_mask:0xf bank_mask:0xf
	v_cndmask_b32_e64 v61, 0, v61, s7
	s_delay_alu instid0(VALU_DEP_1) | instskip(NEXT) | instid1(VALU_DEP_1)
	v_add_nc_u32_e32 v3, v3, v61
	v_mov_b32_dpp v61, v3 row_shr:4 row_mask:0xf bank_mask:0xf
	s_delay_alu instid0(VALU_DEP_1) | instskip(NEXT) | instid1(VALU_DEP_1)
	v_cndmask_b32_e64 v61, 0, v61, s8
	v_add_nc_u32_e32 v3, v3, v61
	s_delay_alu instid0(VALU_DEP_1) | instskip(NEXT) | instid1(VALU_DEP_1)
	v_mov_b32_dpp v61, v3 row_shr:8 row_mask:0xf bank_mask:0xf
	v_cndmask_b32_e64 v61, 0, v61, s9
	s_delay_alu instid0(VALU_DEP_1) | instskip(SKIP_3) | instid1(VALU_DEP_1)
	v_add_nc_u32_e32 v3, v3, v61
	ds_swizzle_b32 v61, v3 offset:swizzle(BROADCAST,32,15)
	s_waitcnt lgkmcnt(0)
	v_cndmask_b32_e64 v61, v61, 0, s10
	v_add_nc_u32_e32 v3, v3, v61
	s_and_saveexec_b32 s15, s14
	s_cbranch_execz .LBB12_19
; %bb.18:                               ;   in Loop: Header=BB12_3 Depth=1
	ds_store_b32 v17, v3
.LBB12_19:                              ;   in Loop: Header=BB12_3 Depth=1
	s_or_b32 exec_lo, exec_lo, s15
	s_waitcnt lgkmcnt(0)
	s_barrier
	buffer_gl0_inv
	s_and_saveexec_b32 s15, s3
	s_cbranch_execz .LBB12_21
; %bb.20:                               ;   in Loop: Header=BB12_3 Depth=1
	ds_load_b32 v61, v34
	s_waitcnt lgkmcnt(0)
	v_mov_b32_dpp v62, v61 row_shr:1 row_mask:0xf bank_mask:0xf
	s_delay_alu instid0(VALU_DEP_1) | instskip(NEXT) | instid1(VALU_DEP_1)
	v_cndmask_b32_e64 v62, v62, 0, s11
	v_add_nc_u32_e32 v61, v62, v61
	s_delay_alu instid0(VALU_DEP_1) | instskip(NEXT) | instid1(VALU_DEP_1)
	v_mov_b32_dpp v62, v61 row_shr:2 row_mask:0xf bank_mask:0xf
	v_cndmask_b32_e64 v62, 0, v62, s12
	s_delay_alu instid0(VALU_DEP_1) | instskip(NEXT) | instid1(VALU_DEP_1)
	v_add_nc_u32_e32 v61, v61, v62
	v_mov_b32_dpp v62, v61 row_shr:4 row_mask:0xf bank_mask:0xf
	s_delay_alu instid0(VALU_DEP_1) | instskip(NEXT) | instid1(VALU_DEP_1)
	v_cndmask_b32_e64 v62, 0, v62, s13
	v_add_nc_u32_e32 v61, v61, v62
	ds_store_b32 v34, v61
.LBB12_21:                              ;   in Loop: Header=BB12_3 Depth=1
	s_or_b32 exec_lo, exec_lo, s15
	v_mov_b32_e32 v61, 0
	s_waitcnt lgkmcnt(0)
	s_barrier
	buffer_gl0_inv
	s_and_saveexec_b32 s15, s4
	s_cbranch_execz .LBB12_23
; %bb.22:                               ;   in Loop: Header=BB12_3 Depth=1
	ds_load_b32 v61, v30
.LBB12_23:                              ;   in Loop: Header=BB12_3 Depth=1
	s_or_b32 exec_lo, exec_lo, s15
	s_waitcnt lgkmcnt(0)
	v_add_nc_u32_e32 v3, v61, v3
	v_lshlrev_b32_e32 v41, 1, v41
	s_add_i32 s18, s18, 8
	s_delay_alu instid0(SALU_CYCLE_1) | instskip(SKIP_3) | instid1(VALU_DEP_1)
	s_cmp_ge_u32 s18, s19
	ds_bpermute_b32 v3, v31, v3
	s_waitcnt lgkmcnt(0)
	v_cndmask_b32_e64 v3, v3, v61, s2
	v_cndmask_b32_e64 v61, v3, 0, s5
	s_delay_alu instid0(VALU_DEP_1) | instskip(NEXT) | instid1(VALU_DEP_1)
	v_dual_mov_b32 v3, v28 :: v_dual_add_nc_u32 v62, v61, v4
	v_add_nc_u32_e32 v4, v62, v5
	s_delay_alu instid0(VALU_DEP_1) | instskip(NEXT) | instid1(VALU_DEP_1)
	v_add_nc_u32_e32 v5, v4, v6
	v_add_nc_u32_e32 v6, v5, v7
	s_delay_alu instid0(VALU_DEP_1) | instskip(NEXT) | instid1(VALU_DEP_1)
	v_add_nc_u32_e32 v7, v6, v0
	v_add_nc_u32_e32 v0, v7, v1
	s_delay_alu instid0(VALU_DEP_1)
	v_add_nc_u32_e32 v1, v0, v2
	ds_store_2addr_b64 v16, v[61:62], v[4:5] offset0:4 offset1:5
	ds_store_2addr_b64 v29, v[6:7], v[0:1] offset0:2 offset1:3
	s_waitcnt lgkmcnt(0)
	s_barrier
	buffer_gl0_inv
	ds_load_b32 v0, v40
	ds_load_b32 v1, v43
	;; [unrolled: 1-line block ×7, first 2 shown]
	v_lshlrev_b32_e32 v4, 1, v39
	v_lshlrev_b32_e32 v39, 1, v42
	;; [unrolled: 1-line block ×12, first 2 shown]
	s_waitcnt lgkmcnt(0)
	v_lshl_add_u32 v4, v0, 1, v4
	v_lshlrev_b32_e32 v0, 1, v1
	v_lshlrev_b32_e32 v1, 1, v2
	;; [unrolled: 1-line block ×6, first 2 shown]
	v_add3_u32 v5, v39, v41, v0
	v_add3_u32 v6, v42, v43, v1
	;; [unrolled: 1-line block ×6, first 2 shown]
	s_cbranch_scc0 .LBB12_2
; %bb.24:
                                        ; implicit-def: $vgpr2
                                        ; implicit-def: $vgpr1
                                        ; implicit-def: $vgpr0
                                        ; implicit-def: $vgpr28
                                        ; implicit-def: $sgpr16
.LBB12_25:
	s_mov_b32 s6, 0
	s_barrier
	buffer_gl0_inv
	ds_store_b16 v4, v3
	ds_store_b16 v5, v38
	;; [unrolled: 1-line block ×7, first 2 shown]
	s_waitcnt lgkmcnt(0)
	s_barrier
.LBB12_26:
	s_and_b32 vcc_lo, exec_lo, s6
	s_cbranch_vccz .LBB12_68
; %bb.27:
	; wave barrier
	ds_load_u16 v31, v27
	ds_load_u16 v13, v27 offset:64
	ds_load_u16 v14, v27 offset:128
	;; [unrolled: 1-line block ×6, first 2 shown]
	s_mov_b32 s2, 0
	s_waitcnt lgkmcnt(0)
	s_mov_b32 s3, s2
	s_mov_b32 s4, s2
	;; [unrolled: 1-line block ×3, first 2 shown]
	s_barrier
	buffer_gl0_inv
	; wave barrier
	s_barrier
	buffer_gl0_inv
	s_load_b32 s1, s[0:1], 0x1c
	v_and_b32_e32 v0, 0xff, v31
	s_delay_alu instid0(VALU_DEP_1) | instskip(NEXT) | instid1(VALU_DEP_1)
	v_and_b32_e32 v6, 0xffff, v0
	v_and_b32_e32 v0, 1, v6
	v_lshlrev_b32_e32 v1, 30, v6
	v_lshlrev_b32_e32 v2, 29, v6
	;; [unrolled: 1-line block ×4, first 2 shown]
	v_add_co_u32 v0, s0, v0, -1
	s_delay_alu instid0(VALU_DEP_1)
	v_cndmask_b32_e64 v4, 0, 1, s0
	v_not_b32_e32 v12, v1
	v_cmp_gt_i32_e64 s0, 0, v1
	v_not_b32_e32 v1, v2
	v_lshlrev_b32_e32 v7, 26, v6
	v_cmp_ne_u32_e32 vcc_lo, 0, v4
	v_ashrrev_i32_e32 v12, 31, v12
	v_lshlrev_b32_e32 v11, 25, v6
	v_ashrrev_i32_e32 v1, 31, v1
	v_lshlrev_b32_e32 v4, 24, v6
	v_xor_b32_e32 v0, vcc_lo, v0
	v_cmp_gt_i32_e32 vcc_lo, 0, v2
	v_not_b32_e32 v2, v3
	v_xor_b32_e32 v12, s0, v12
	v_cmp_gt_i32_e64 s0, 0, v3
	v_and_b32_e32 v0, exec_lo, v0
	v_not_b32_e32 v3, v5
	v_ashrrev_i32_e32 v2, 31, v2
	v_xor_b32_e32 v1, vcc_lo, v1
	v_cmp_gt_i32_e32 vcc_lo, 0, v5
	v_and_b32_e32 v0, v0, v12
	v_not_b32_e32 v5, v7
	v_ashrrev_i32_e32 v3, 31, v3
	v_xor_b32_e32 v2, s0, v2
	v_cmp_gt_i32_e64 s0, 0, v7
	v_and_b32_e32 v0, v0, v1
	v_not_b32_e32 v1, v11
	v_ashrrev_i32_e32 v5, 31, v5
	v_xor_b32_e32 v3, vcc_lo, v3
	v_cmp_gt_i32_e32 vcc_lo, 0, v11
	v_and_b32_e32 v0, v0, v2
	v_not_b32_e32 v2, v4
	v_ashrrev_i32_e32 v1, 31, v1
	v_xor_b32_e32 v5, s0, v5
	v_cmp_gt_i32_e64 s0, 0, v4
	v_and_b32_e32 v0, v0, v3
	v_ashrrev_i32_e32 v2, 31, v2
	v_xor_b32_e32 v1, vcc_lo, v1
	s_waitcnt lgkmcnt(0)
	s_lshr_b32 s6, s1, 16
	v_and_b32_e32 v0, v0, v5
	v_mad_u32_u24 v5, v26, s6, v25
	v_xor_b32_e32 v7, s0, v2
	s_and_b32 s0, s1, 0xffff
	s_delay_alu instid0(VALU_DEP_3) | instskip(NEXT) | instid1(VALU_DEP_3)
	v_and_b32_e32 v0, v0, v1
	v_mad_u64_u32 v[3:4], null, v5, s0, v[10:11]
	v_dual_mov_b32 v4, s4 :: v_dual_mov_b32 v1, s2
	s_delay_alu instid0(VALU_DEP_3)
	v_and_b32_e32 v0, v0, v7
	v_dual_mov_b32 v2, s3 :: v_dual_mov_b32 v5, s5
	ds_store_2addr_b64 v16, v[1:2], v[4:5] offset0:4 offset1:5
	ds_store_2addr_b64 v16, v[1:2], v[4:5] offset0:6 offset1:7
	v_mbcnt_lo_u32_b32 v26, v0, 0
	v_lshlrev_b32_e32 v1, 3, v6
	v_lshrrev_b32_e32 v11, 5, v3
	v_cmp_ne_u32_e64 s0, 0, v0
	s_waitcnt lgkmcnt(0)
	v_cmp_eq_u32_e32 vcc_lo, 0, v26
	s_barrier
	v_add_lshl_u32 v25, v1, v11, 2
	buffer_gl0_inv
	s_and_b32 s1, s0, vcc_lo
	; wave barrier
	s_delay_alu instid0(SALU_CYCLE_1)
	s_and_saveexec_b32 s0, s1
	s_cbranch_execz .LBB12_29
; %bb.28:
	v_bcnt_u32_b32 v0, v0, 0
	ds_store_b32 v25, v0 offset:32
.LBB12_29:
	s_or_b32 exec_lo, exec_lo, s0
	v_and_b32_e32 v0, 0xff, v13
	; wave barrier
	s_delay_alu instid0(VALU_DEP_1) | instskip(NEXT) | instid1(VALU_DEP_1)
	v_and_b32_e32 v0, 0xffff, v0
	v_and_b32_e32 v1, 1, v0
	v_lshlrev_b32_e32 v2, 30, v0
	v_lshlrev_b32_e32 v3, 29, v0
	;; [unrolled: 1-line block ×4, first 2 shown]
	v_add_co_u32 v1, s0, v1, -1
	s_delay_alu instid0(VALU_DEP_1)
	v_cndmask_b32_e64 v5, 0, 1, s0
	v_not_b32_e32 v32, v2
	v_cmp_gt_i32_e64 s0, 0, v2
	v_not_b32_e32 v2, v3
	v_lshlrev_b32_e32 v7, 26, v0
	v_cmp_ne_u32_e32 vcc_lo, 0, v5
	v_ashrrev_i32_e32 v32, 31, v32
	v_lshlrev_b32_e32 v12, 25, v0
	v_ashrrev_i32_e32 v2, 31, v2
	v_lshlrev_b32_e32 v5, 24, v0
	v_xor_b32_e32 v1, vcc_lo, v1
	v_cmp_gt_i32_e32 vcc_lo, 0, v3
	v_not_b32_e32 v3, v4
	v_xor_b32_e32 v32, s0, v32
	v_cmp_gt_i32_e64 s0, 0, v4
	v_and_b32_e32 v1, exec_lo, v1
	v_not_b32_e32 v4, v6
	v_ashrrev_i32_e32 v3, 31, v3
	v_xor_b32_e32 v2, vcc_lo, v2
	v_cmp_gt_i32_e32 vcc_lo, 0, v6
	v_and_b32_e32 v1, v1, v32
	v_not_b32_e32 v6, v7
	v_ashrrev_i32_e32 v4, 31, v4
	v_xor_b32_e32 v3, s0, v3
	v_cmp_gt_i32_e64 s0, 0, v7
	v_and_b32_e32 v1, v1, v2
	v_not_b32_e32 v2, v12
	v_ashrrev_i32_e32 v6, 31, v6
	v_xor_b32_e32 v4, vcc_lo, v4
	v_cmp_gt_i32_e32 vcc_lo, 0, v12
	v_and_b32_e32 v1, v1, v3
	v_not_b32_e32 v3, v5
	v_ashrrev_i32_e32 v2, 31, v2
	v_xor_b32_e32 v6, s0, v6
	v_lshlrev_b32_e32 v0, 3, v0
	v_and_b32_e32 v1, v1, v4
	v_cmp_gt_i32_e64 s0, 0, v5
	v_ashrrev_i32_e32 v3, 31, v3
	v_xor_b32_e32 v2, vcc_lo, v2
	v_add_lshl_u32 v32, v0, v11, 2
	v_and_b32_e32 v1, v1, v6
	s_delay_alu instid0(VALU_DEP_4) | instskip(SKIP_2) | instid1(VALU_DEP_1)
	v_xor_b32_e32 v0, s0, v3
	ds_load_b32 v33, v32 offset:32
	v_and_b32_e32 v1, v1, v2
	; wave barrier
	v_and_b32_e32 v0, v1, v0
	s_delay_alu instid0(VALU_DEP_1) | instskip(SKIP_1) | instid1(VALU_DEP_2)
	v_mbcnt_lo_u32_b32 v34, v0, 0
	v_cmp_ne_u32_e64 s0, 0, v0
	v_cmp_eq_u32_e32 vcc_lo, 0, v34
	s_delay_alu instid0(VALU_DEP_2) | instskip(NEXT) | instid1(SALU_CYCLE_1)
	s_and_b32 s1, s0, vcc_lo
	s_and_saveexec_b32 s0, s1
	s_cbranch_execz .LBB12_31
; %bb.30:
	s_waitcnt lgkmcnt(0)
	v_bcnt_u32_b32 v0, v0, v33
	ds_store_b32 v32, v0 offset:32
.LBB12_31:
	s_or_b32 exec_lo, exec_lo, s0
	v_and_b32_e32 v0, 0xff, v14
	; wave barrier
	s_delay_alu instid0(VALU_DEP_1) | instskip(NEXT) | instid1(VALU_DEP_1)
	v_and_b32_e32 v0, 0xffff, v0
	v_and_b32_e32 v1, 1, v0
	v_lshlrev_b32_e32 v2, 30, v0
	v_lshlrev_b32_e32 v3, 29, v0
	;; [unrolled: 1-line block ×4, first 2 shown]
	v_add_co_u32 v1, s0, v1, -1
	s_delay_alu instid0(VALU_DEP_1)
	v_cndmask_b32_e64 v5, 0, 1, s0
	v_not_b32_e32 v35, v2
	v_cmp_gt_i32_e64 s0, 0, v2
	v_not_b32_e32 v2, v3
	v_lshlrev_b32_e32 v7, 26, v0
	v_cmp_ne_u32_e32 vcc_lo, 0, v5
	v_ashrrev_i32_e32 v35, 31, v35
	v_lshlrev_b32_e32 v12, 25, v0
	v_ashrrev_i32_e32 v2, 31, v2
	v_lshlrev_b32_e32 v5, 24, v0
	v_xor_b32_e32 v1, vcc_lo, v1
	v_cmp_gt_i32_e32 vcc_lo, 0, v3
	v_not_b32_e32 v3, v4
	v_xor_b32_e32 v35, s0, v35
	v_cmp_gt_i32_e64 s0, 0, v4
	v_and_b32_e32 v1, exec_lo, v1
	v_not_b32_e32 v4, v6
	v_ashrrev_i32_e32 v3, 31, v3
	v_xor_b32_e32 v2, vcc_lo, v2
	v_cmp_gt_i32_e32 vcc_lo, 0, v6
	v_and_b32_e32 v1, v1, v35
	v_not_b32_e32 v6, v7
	v_ashrrev_i32_e32 v4, 31, v4
	v_xor_b32_e32 v3, s0, v3
	v_cmp_gt_i32_e64 s0, 0, v7
	v_and_b32_e32 v1, v1, v2
	v_not_b32_e32 v2, v12
	v_ashrrev_i32_e32 v6, 31, v6
	v_xor_b32_e32 v4, vcc_lo, v4
	v_cmp_gt_i32_e32 vcc_lo, 0, v12
	v_and_b32_e32 v1, v1, v3
	v_not_b32_e32 v3, v5
	v_ashrrev_i32_e32 v2, 31, v2
	v_xor_b32_e32 v6, s0, v6
	v_lshlrev_b32_e32 v0, 3, v0
	v_and_b32_e32 v1, v1, v4
	v_cmp_gt_i32_e64 s0, 0, v5
	v_ashrrev_i32_e32 v3, 31, v3
	v_xor_b32_e32 v2, vcc_lo, v2
	v_add_lshl_u32 v36, v0, v11, 2
	v_and_b32_e32 v1, v1, v6
	s_delay_alu instid0(VALU_DEP_4) | instskip(SKIP_2) | instid1(VALU_DEP_1)
	v_xor_b32_e32 v0, s0, v3
	ds_load_b32 v35, v36 offset:32
	v_and_b32_e32 v1, v1, v2
	; wave barrier
	v_and_b32_e32 v0, v1, v0
	s_delay_alu instid0(VALU_DEP_1) | instskip(SKIP_1) | instid1(VALU_DEP_2)
	v_mbcnt_lo_u32_b32 v37, v0, 0
	v_cmp_ne_u32_e64 s0, 0, v0
	v_cmp_eq_u32_e32 vcc_lo, 0, v37
	s_delay_alu instid0(VALU_DEP_2) | instskip(NEXT) | instid1(SALU_CYCLE_1)
	s_and_b32 s1, s0, vcc_lo
	s_and_saveexec_b32 s0, s1
	s_cbranch_execz .LBB12_33
; %bb.32:
	s_waitcnt lgkmcnt(0)
	v_bcnt_u32_b32 v0, v0, v35
	ds_store_b32 v36, v0 offset:32
.LBB12_33:
	s_or_b32 exec_lo, exec_lo, s0
	v_and_b32_e32 v0, 0xff, v28
	; wave barrier
	s_delay_alu instid0(VALU_DEP_1) | instskip(NEXT) | instid1(VALU_DEP_1)
	v_and_b32_e32 v0, 0xffff, v0
	v_and_b32_e32 v1, 1, v0
	v_lshlrev_b32_e32 v2, 30, v0
	v_lshlrev_b32_e32 v3, 29, v0
	;; [unrolled: 1-line block ×4, first 2 shown]
	v_add_co_u32 v1, s0, v1, -1
	s_delay_alu instid0(VALU_DEP_1)
	v_cndmask_b32_e64 v5, 0, 1, s0
	v_not_b32_e32 v38, v2
	v_cmp_gt_i32_e64 s0, 0, v2
	v_not_b32_e32 v2, v3
	v_lshlrev_b32_e32 v7, 26, v0
	v_cmp_ne_u32_e32 vcc_lo, 0, v5
	v_ashrrev_i32_e32 v38, 31, v38
	v_lshlrev_b32_e32 v12, 25, v0
	v_ashrrev_i32_e32 v2, 31, v2
	v_lshlrev_b32_e32 v5, 24, v0
	v_xor_b32_e32 v1, vcc_lo, v1
	v_cmp_gt_i32_e32 vcc_lo, 0, v3
	v_not_b32_e32 v3, v4
	v_xor_b32_e32 v38, s0, v38
	v_cmp_gt_i32_e64 s0, 0, v4
	v_and_b32_e32 v1, exec_lo, v1
	v_not_b32_e32 v4, v6
	v_ashrrev_i32_e32 v3, 31, v3
	v_xor_b32_e32 v2, vcc_lo, v2
	v_cmp_gt_i32_e32 vcc_lo, 0, v6
	v_and_b32_e32 v1, v1, v38
	v_not_b32_e32 v6, v7
	v_ashrrev_i32_e32 v4, 31, v4
	v_xor_b32_e32 v3, s0, v3
	v_cmp_gt_i32_e64 s0, 0, v7
	v_and_b32_e32 v1, v1, v2
	v_not_b32_e32 v2, v12
	v_ashrrev_i32_e32 v6, 31, v6
	v_xor_b32_e32 v4, vcc_lo, v4
	v_cmp_gt_i32_e32 vcc_lo, 0, v12
	v_and_b32_e32 v1, v1, v3
	v_not_b32_e32 v3, v5
	v_ashrrev_i32_e32 v2, 31, v2
	v_xor_b32_e32 v6, s0, v6
	v_lshlrev_b32_e32 v0, 3, v0
	v_and_b32_e32 v1, v1, v4
	v_cmp_gt_i32_e64 s0, 0, v5
	v_ashrrev_i32_e32 v3, 31, v3
	v_xor_b32_e32 v2, vcc_lo, v2
	v_add_lshl_u32 v40, v0, v11, 2
	v_and_b32_e32 v1, v1, v6
	s_delay_alu instid0(VALU_DEP_4) | instskip(SKIP_2) | instid1(VALU_DEP_1)
	v_xor_b32_e32 v0, s0, v3
	ds_load_b32 v38, v40 offset:32
	v_and_b32_e32 v1, v1, v2
	; wave barrier
	v_and_b32_e32 v0, v1, v0
	s_delay_alu instid0(VALU_DEP_1) | instskip(SKIP_1) | instid1(VALU_DEP_2)
	v_mbcnt_lo_u32_b32 v39, v0, 0
	v_cmp_ne_u32_e64 s0, 0, v0
	v_cmp_eq_u32_e32 vcc_lo, 0, v39
	s_delay_alu instid0(VALU_DEP_2) | instskip(NEXT) | instid1(SALU_CYCLE_1)
	s_and_b32 s1, s0, vcc_lo
	s_and_saveexec_b32 s0, s1
	s_cbranch_execz .LBB12_35
; %bb.34:
	s_waitcnt lgkmcnt(0)
	v_bcnt_u32_b32 v0, v0, v38
	ds_store_b32 v40, v0 offset:32
.LBB12_35:
	s_or_b32 exec_lo, exec_lo, s0
	v_and_b32_e32 v0, 0xff, v29
	; wave barrier
	s_delay_alu instid0(VALU_DEP_1) | instskip(NEXT) | instid1(VALU_DEP_1)
	v_and_b32_e32 v0, 0xffff, v0
	v_and_b32_e32 v1, 1, v0
	v_lshlrev_b32_e32 v2, 30, v0
	v_lshlrev_b32_e32 v3, 29, v0
	;; [unrolled: 1-line block ×4, first 2 shown]
	v_add_co_u32 v1, s0, v1, -1
	s_delay_alu instid0(VALU_DEP_1)
	v_cndmask_b32_e64 v5, 0, 1, s0
	v_not_b32_e32 v41, v2
	v_cmp_gt_i32_e64 s0, 0, v2
	v_not_b32_e32 v2, v3
	v_lshlrev_b32_e32 v7, 26, v0
	v_cmp_ne_u32_e32 vcc_lo, 0, v5
	v_ashrrev_i32_e32 v41, 31, v41
	v_lshlrev_b32_e32 v12, 25, v0
	v_ashrrev_i32_e32 v2, 31, v2
	v_lshlrev_b32_e32 v5, 24, v0
	v_xor_b32_e32 v1, vcc_lo, v1
	v_cmp_gt_i32_e32 vcc_lo, 0, v3
	v_not_b32_e32 v3, v4
	v_xor_b32_e32 v41, s0, v41
	v_cmp_gt_i32_e64 s0, 0, v4
	v_and_b32_e32 v1, exec_lo, v1
	v_not_b32_e32 v4, v6
	v_ashrrev_i32_e32 v3, 31, v3
	v_xor_b32_e32 v2, vcc_lo, v2
	v_cmp_gt_i32_e32 vcc_lo, 0, v6
	v_and_b32_e32 v1, v1, v41
	v_not_b32_e32 v6, v7
	v_ashrrev_i32_e32 v4, 31, v4
	v_xor_b32_e32 v3, s0, v3
	v_cmp_gt_i32_e64 s0, 0, v7
	v_and_b32_e32 v1, v1, v2
	v_not_b32_e32 v2, v12
	v_ashrrev_i32_e32 v6, 31, v6
	v_xor_b32_e32 v4, vcc_lo, v4
	v_cmp_gt_i32_e32 vcc_lo, 0, v12
	v_and_b32_e32 v1, v1, v3
	v_not_b32_e32 v3, v5
	v_ashrrev_i32_e32 v2, 31, v2
	v_xor_b32_e32 v6, s0, v6
	v_lshlrev_b32_e32 v0, 3, v0
	v_and_b32_e32 v1, v1, v4
	v_cmp_gt_i32_e64 s0, 0, v5
	v_ashrrev_i32_e32 v3, 31, v3
	v_xor_b32_e32 v2, vcc_lo, v2
	v_add_lshl_u32 v43, v0, v11, 2
	v_and_b32_e32 v1, v1, v6
	s_delay_alu instid0(VALU_DEP_4) | instskip(SKIP_2) | instid1(VALU_DEP_1)
	v_xor_b32_e32 v0, s0, v3
	ds_load_b32 v41, v43 offset:32
	v_and_b32_e32 v1, v1, v2
	; wave barrier
	v_and_b32_e32 v0, v1, v0
	s_delay_alu instid0(VALU_DEP_1) | instskip(SKIP_1) | instid1(VALU_DEP_2)
	v_mbcnt_lo_u32_b32 v42, v0, 0
	v_cmp_ne_u32_e64 s0, 0, v0
	v_cmp_eq_u32_e32 vcc_lo, 0, v42
	s_delay_alu instid0(VALU_DEP_2) | instskip(NEXT) | instid1(SALU_CYCLE_1)
	s_and_b32 s1, s0, vcc_lo
	s_and_saveexec_b32 s0, s1
	s_cbranch_execz .LBB12_37
; %bb.36:
	s_waitcnt lgkmcnt(0)
	v_bcnt_u32_b32 v0, v0, v41
	ds_store_b32 v43, v0 offset:32
.LBB12_37:
	s_or_b32 exec_lo, exec_lo, s0
	v_and_b32_e32 v0, 0xff, v30
	; wave barrier
	s_delay_alu instid0(VALU_DEP_1) | instskip(NEXT) | instid1(VALU_DEP_1)
	v_and_b32_e32 v0, 0xffff, v0
	v_and_b32_e32 v1, 1, v0
	v_lshlrev_b32_e32 v2, 30, v0
	v_lshlrev_b32_e32 v3, 29, v0
	;; [unrolled: 1-line block ×4, first 2 shown]
	v_add_co_u32 v1, s0, v1, -1
	s_delay_alu instid0(VALU_DEP_1)
	v_cndmask_b32_e64 v5, 0, 1, s0
	v_not_b32_e32 v44, v2
	v_cmp_gt_i32_e64 s0, 0, v2
	v_not_b32_e32 v2, v3
	v_lshlrev_b32_e32 v7, 26, v0
	v_cmp_ne_u32_e32 vcc_lo, 0, v5
	v_ashrrev_i32_e32 v44, 31, v44
	v_lshlrev_b32_e32 v12, 25, v0
	v_ashrrev_i32_e32 v2, 31, v2
	v_lshlrev_b32_e32 v5, 24, v0
	v_xor_b32_e32 v1, vcc_lo, v1
	v_cmp_gt_i32_e32 vcc_lo, 0, v3
	v_not_b32_e32 v3, v4
	v_xor_b32_e32 v44, s0, v44
	v_cmp_gt_i32_e64 s0, 0, v4
	v_and_b32_e32 v1, exec_lo, v1
	v_not_b32_e32 v4, v6
	v_ashrrev_i32_e32 v3, 31, v3
	v_xor_b32_e32 v2, vcc_lo, v2
	v_cmp_gt_i32_e32 vcc_lo, 0, v6
	v_and_b32_e32 v1, v1, v44
	v_not_b32_e32 v6, v7
	v_ashrrev_i32_e32 v4, 31, v4
	v_xor_b32_e32 v3, s0, v3
	v_cmp_gt_i32_e64 s0, 0, v7
	v_and_b32_e32 v1, v1, v2
	v_not_b32_e32 v2, v12
	v_ashrrev_i32_e32 v6, 31, v6
	v_xor_b32_e32 v4, vcc_lo, v4
	v_cmp_gt_i32_e32 vcc_lo, 0, v12
	v_and_b32_e32 v1, v1, v3
	v_not_b32_e32 v3, v5
	v_ashrrev_i32_e32 v2, 31, v2
	v_xor_b32_e32 v6, s0, v6
	v_lshlrev_b32_e32 v0, 3, v0
	v_and_b32_e32 v1, v1, v4
	v_cmp_gt_i32_e64 s0, 0, v5
	v_ashrrev_i32_e32 v3, 31, v3
	v_xor_b32_e32 v2, vcc_lo, v2
	v_add_lshl_u32 v46, v0, v11, 2
	v_and_b32_e32 v1, v1, v6
	s_delay_alu instid0(VALU_DEP_4) | instskip(SKIP_2) | instid1(VALU_DEP_1)
	v_xor_b32_e32 v0, s0, v3
	ds_load_b32 v44, v46 offset:32
	v_and_b32_e32 v1, v1, v2
	; wave barrier
	v_and_b32_e32 v0, v1, v0
	s_delay_alu instid0(VALU_DEP_1) | instskip(SKIP_1) | instid1(VALU_DEP_2)
	v_mbcnt_lo_u32_b32 v45, v0, 0
	v_cmp_ne_u32_e64 s0, 0, v0
	v_cmp_eq_u32_e32 vcc_lo, 0, v45
	s_delay_alu instid0(VALU_DEP_2) | instskip(NEXT) | instid1(SALU_CYCLE_1)
	s_and_b32 s1, s0, vcc_lo
	s_and_saveexec_b32 s0, s1
	s_cbranch_execz .LBB12_39
; %bb.38:
	s_waitcnt lgkmcnt(0)
	v_bcnt_u32_b32 v0, v0, v44
	ds_store_b32 v46, v0 offset:32
.LBB12_39:
	s_or_b32 exec_lo, exec_lo, s0
	v_and_b32_e32 v0, 0xff, v27
	; wave barrier
	v_min_u32_e32 v50, 0xe0, v20
	s_delay_alu instid0(VALU_DEP_2) | instskip(NEXT) | instid1(VALU_DEP_1)
	v_and_b32_e32 v0, 0xffff, v0
	v_and_b32_e32 v1, 1, v0
	v_lshlrev_b32_e32 v2, 30, v0
	v_lshlrev_b32_e32 v3, 29, v0
	;; [unrolled: 1-line block ×4, first 2 shown]
	v_add_co_u32 v1, s0, v1, -1
	s_delay_alu instid0(VALU_DEP_1)
	v_cndmask_b32_e64 v5, 0, 1, s0
	v_not_b32_e32 v47, v2
	v_cmp_gt_i32_e64 s0, 0, v2
	v_not_b32_e32 v2, v3
	v_lshlrev_b32_e32 v7, 26, v0
	v_cmp_ne_u32_e32 vcc_lo, 0, v5
	v_ashrrev_i32_e32 v47, 31, v47
	v_lshlrev_b32_e32 v12, 25, v0
	v_ashrrev_i32_e32 v2, 31, v2
	v_lshlrev_b32_e32 v5, 24, v0
	v_xor_b32_e32 v1, vcc_lo, v1
	v_cmp_gt_i32_e32 vcc_lo, 0, v3
	v_not_b32_e32 v3, v4
	v_xor_b32_e32 v47, s0, v47
	v_cmp_gt_i32_e64 s0, 0, v4
	v_and_b32_e32 v1, exec_lo, v1
	v_not_b32_e32 v4, v6
	v_ashrrev_i32_e32 v3, 31, v3
	v_xor_b32_e32 v2, vcc_lo, v2
	v_cmp_gt_i32_e32 vcc_lo, 0, v6
	v_and_b32_e32 v1, v1, v47
	v_not_b32_e32 v6, v7
	v_ashrrev_i32_e32 v4, 31, v4
	v_xor_b32_e32 v3, s0, v3
	v_cmp_gt_i32_e64 s0, 0, v7
	v_and_b32_e32 v1, v1, v2
	v_not_b32_e32 v2, v12
	v_ashrrev_i32_e32 v6, 31, v6
	v_xor_b32_e32 v4, vcc_lo, v4
	v_cmp_gt_i32_e32 vcc_lo, 0, v12
	v_and_b32_e32 v1, v1, v3
	v_not_b32_e32 v3, v5
	v_ashrrev_i32_e32 v2, 31, v2
	v_xor_b32_e32 v6, s0, v6
	v_lshlrev_b32_e32 v0, 3, v0
	v_and_b32_e32 v1, v1, v4
	v_cmp_gt_i32_e64 s0, 0, v5
	v_ashrrev_i32_e32 v3, 31, v3
	v_xor_b32_e32 v2, vcc_lo, v2
	v_add_lshl_u32 v49, v0, v11, 2
	v_and_b32_e32 v1, v1, v6
	v_add_nc_u32_e32 v12, 32, v16
	v_xor_b32_e32 v0, s0, v3
	ds_load_b32 v47, v49 offset:32
	v_and_b32_e32 v1, v1, v2
	; wave barrier
	s_delay_alu instid0(VALU_DEP_1) | instskip(NEXT) | instid1(VALU_DEP_1)
	v_and_b32_e32 v0, v1, v0
	v_mbcnt_lo_u32_b32 v48, v0, 0
	v_cmp_ne_u32_e64 s0, 0, v0
	s_delay_alu instid0(VALU_DEP_2) | instskip(NEXT) | instid1(VALU_DEP_2)
	v_cmp_eq_u32_e32 vcc_lo, 0, v48
	s_and_b32 s1, s0, vcc_lo
	s_delay_alu instid0(SALU_CYCLE_1)
	s_and_saveexec_b32 s0, s1
	s_cbranch_execz .LBB12_41
; %bb.40:
	s_waitcnt lgkmcnt(0)
	v_bcnt_u32_b32 v0, v0, v47
	ds_store_b32 v49, v0 offset:32
.LBB12_41:
	s_or_b32 exec_lo, exec_lo, s0
	; wave barrier
	s_waitcnt lgkmcnt(0)
	s_barrier
	buffer_gl0_inv
	ds_load_2addr_b64 v[4:7], v16 offset0:4 offset1:5
	ds_load_2addr_b64 v[0:3], v12 offset0:2 offset1:3
	v_cmp_eq_u32_e64 s2, 0, v24
	v_cmp_lt_u32_e64 s3, 1, v24
	v_cmp_lt_u32_e64 s4, 3, v24
	v_cmp_lt_u32_e64 s5, 7, v24
	v_or_b32_e32 v50, 31, v50
	v_cmp_eq_u32_e64 s8, 0, v23
	s_delay_alu instid0(VALU_DEP_2) | instskip(SKIP_2) | instid1(VALU_DEP_1)
	v_cmp_eq_u32_e64 s7, v50, v10
	s_waitcnt lgkmcnt(1)
	v_add_nc_u32_e32 v51, v5, v4
	v_add3_u32 v51, v51, v6, v7
	s_waitcnt lgkmcnt(0)
	s_delay_alu instid0(VALU_DEP_1) | instskip(NEXT) | instid1(VALU_DEP_1)
	v_add3_u32 v51, v51, v0, v1
	v_add3_u32 v3, v51, v2, v3
	s_delay_alu instid0(VALU_DEP_1) | instskip(NEXT) | instid1(VALU_DEP_1)
	v_mov_b32_dpp v51, v3 row_shr:1 row_mask:0xf bank_mask:0xf
	v_cndmask_b32_e64 v51, v51, 0, s2
	s_delay_alu instid0(VALU_DEP_1) | instskip(NEXT) | instid1(VALU_DEP_1)
	v_add_nc_u32_e32 v3, v51, v3
	v_mov_b32_dpp v51, v3 row_shr:2 row_mask:0xf bank_mask:0xf
	s_delay_alu instid0(VALU_DEP_1) | instskip(NEXT) | instid1(VALU_DEP_1)
	v_cndmask_b32_e64 v51, 0, v51, s3
	v_add_nc_u32_e32 v3, v3, v51
	s_delay_alu instid0(VALU_DEP_1) | instskip(NEXT) | instid1(VALU_DEP_1)
	v_mov_b32_dpp v51, v3 row_shr:4 row_mask:0xf bank_mask:0xf
	v_cndmask_b32_e64 v51, 0, v51, s4
	s_delay_alu instid0(VALU_DEP_1) | instskip(NEXT) | instid1(VALU_DEP_1)
	v_add_nc_u32_e32 v3, v3, v51
	v_mov_b32_dpp v51, v3 row_shr:8 row_mask:0xf bank_mask:0xf
	s_delay_alu instid0(VALU_DEP_1) | instskip(SKIP_1) | instid1(VALU_DEP_2)
	v_cndmask_b32_e64 v24, 0, v51, s5
	v_bfe_i32 v51, v18, 4, 1
	v_add_nc_u32_e32 v3, v3, v24
	ds_swizzle_b32 v24, v3 offset:swizzle(BROADCAST,32,15)
	s_waitcnt lgkmcnt(0)
	v_and_b32_e32 v24, v51, v24
	s_delay_alu instid0(VALU_DEP_1)
	v_add_nc_u32_e32 v3, v3, v24
	s_and_saveexec_b32 s0, s7
	s_cbranch_execz .LBB12_43
; %bb.42:
	ds_store_b32 v17, v3
.LBB12_43:
	s_or_b32 exec_lo, exec_lo, s0
	v_cmp_gt_u32_e64 s6, 8, v10
	v_cmp_eq_u32_e64 s1, 0, v21
	v_cmp_lt_u32_e64 s0, 1, v21
	v_cmp_lt_u32_e32 vcc_lo, 3, v21
	v_add_nc_u32_e32 v21, v16, v22
	s_waitcnt lgkmcnt(0)
	s_barrier
	buffer_gl0_inv
	s_and_saveexec_b32 s9, s6
	s_cbranch_execz .LBB12_45
; %bb.44:
	ds_load_b32 v22, v21
	s_waitcnt lgkmcnt(0)
	v_mov_b32_dpp v23, v22 row_shr:1 row_mask:0xf bank_mask:0xf
	s_delay_alu instid0(VALU_DEP_1) | instskip(NEXT) | instid1(VALU_DEP_1)
	v_cndmask_b32_e64 v23, v23, 0, s1
	v_add_nc_u32_e32 v22, v23, v22
	s_delay_alu instid0(VALU_DEP_1) | instskip(NEXT) | instid1(VALU_DEP_1)
	v_mov_b32_dpp v23, v22 row_shr:2 row_mask:0xf bank_mask:0xf
	v_cndmask_b32_e64 v23, 0, v23, s0
	s_delay_alu instid0(VALU_DEP_1) | instskip(NEXT) | instid1(VALU_DEP_1)
	v_add_nc_u32_e32 v22, v22, v23
	v_mov_b32_dpp v23, v22 row_shr:4 row_mask:0xf bank_mask:0xf
	s_delay_alu instid0(VALU_DEP_1) | instskip(NEXT) | instid1(VALU_DEP_1)
	v_cndmask_b32_e32 v23, 0, v23, vcc_lo
	v_add_nc_u32_e32 v22, v22, v23
	ds_store_b32 v21, v22
.LBB12_45:
	s_or_b32 exec_lo, exec_lo, s9
	v_mul_u32_u24_e32 v22, 7, v20
	v_cmp_lt_u32_e64 s9, 31, v10
	v_dual_mov_b32 v23, 0 :: v_dual_add_nc_u32 v20, -4, v17
	s_waitcnt lgkmcnt(0)
	s_barrier
	buffer_gl0_inv
	s_and_saveexec_b32 s10, s9
	s_cbranch_execz .LBB12_47
; %bb.46:
	ds_load_b32 v23, v20
.LBB12_47:
	s_or_b32 exec_lo, exec_lo, s10
	v_cmp_gt_i32_e64 s10, 0, v19
	s_waitcnt lgkmcnt(0)
	v_add_nc_u32_e32 v3, v23, v3
	v_cmp_eq_u32_e64 s11, 0, v10
	v_lshlrev_b32_e32 v10, 1, v34
	v_lshlrev_b32_e32 v34, 1, v45
	v_cndmask_b32_e64 v19, v19, v18, s10
	v_cmp_eq_u32_e64 s10, 0, v18
	s_delay_alu instid0(VALU_DEP_2) | instskip(SKIP_3) | instid1(VALU_DEP_1)
	v_lshlrev_b32_e32 v19, 2, v19
	ds_bpermute_b32 v3, v19, v3
	s_waitcnt lgkmcnt(0)
	v_cndmask_b32_e64 v3, v3, v23, s10
	v_cndmask_b32_e64 v3, v3, 0, s11
	s_delay_alu instid0(VALU_DEP_1) | instskip(NEXT) | instid1(VALU_DEP_1)
	v_add_nc_u32_e32 v4, v3, v4
	v_add_nc_u32_e32 v5, v4, v5
	s_delay_alu instid0(VALU_DEP_1) | instskip(NEXT) | instid1(VALU_DEP_1)
	v_add_nc_u32_e32 v6, v5, v6
	v_add_nc_u32_e32 v23, v6, v7
	v_add_lshl_u32 v7, v18, v22, 1
	v_lshlrev_b32_e32 v18, 1, v33
	v_lshlrev_b32_e32 v33, 1, v41
	s_delay_alu instid0(VALU_DEP_4) | instskip(NEXT) | instid1(VALU_DEP_1)
	v_add_nc_u32_e32 v24, v23, v0
	v_add_nc_u32_e32 v0, v24, v1
	s_delay_alu instid0(VALU_DEP_1)
	v_add_nc_u32_e32 v1, v0, v2
	v_lshlrev_b32_e32 v2, 1, v26
	v_lshlrev_b32_e32 v26, 1, v38
	ds_store_2addr_b64 v16, v[3:4], v[5:6] offset0:4 offset1:5
	ds_store_2addr_b64 v12, v[23:24], v[0:1] offset0:2 offset1:3
	s_waitcnt lgkmcnt(0)
	s_barrier
	buffer_gl0_inv
	ds_load_b32 v0, v25 offset:32
	ds_load_b32 v1, v32 offset:32
	ds_load_b32 v3, v36 offset:32
	ds_load_b32 v4, v40 offset:32
	ds_load_b32 v5, v43 offset:32
	ds_load_b32 v6, v46 offset:32
	ds_load_b32 v22, v49 offset:32
	v_lshlrev_b32_e32 v23, 1, v37
	v_lshlrev_b32_e32 v24, 1, v35
	;; [unrolled: 1-line block ×7, first 2 shown]
	s_waitcnt lgkmcnt(0)
	s_barrier
	buffer_gl0_inv
	v_lshl_add_u32 v0, v0, 1, v2
	v_lshlrev_b32_e32 v1, 1, v1
	v_lshlrev_b32_e32 v2, 1, v3
	v_lshlrev_b32_e32 v3, 1, v4
	v_lshlrev_b32_e32 v4, 1, v5
	v_lshlrev_b32_e32 v5, 1, v6
	v_lshlrev_b32_e32 v6, 1, v22
	ds_store_b16 v0, v31
	v_add3_u32 v0, v10, v18, v1
	v_add3_u32 v1, v23, v24, v2
	;; [unrolled: 1-line block ×6, first 2 shown]
	ds_store_b16 v0, v13
	ds_store_b16 v1, v14
	;; [unrolled: 1-line block ×6, first 2 shown]
	s_waitcnt lgkmcnt(0)
	s_barrier
	buffer_gl0_inv
	ds_load_u16 v24, v7
	ds_load_u16 v10, v7 offset:64
	ds_load_u16 v13, v7 offset:128
	ds_load_u16 v14, v7 offset:192
	ds_load_u16 v18, v7 offset:256
	ds_load_u16 v22, v7 offset:320
	ds_load_u16 v23, v7 offset:384
	s_waitcnt lgkmcnt(0)
	s_barrier
	buffer_gl0_inv
	v_lshrrev_b16 v0, 8, v24
	s_delay_alu instid0(VALU_DEP_1) | instskip(NEXT) | instid1(VALU_DEP_1)
	v_and_b32_e32 v5, 0xffff, v0
	v_and_b32_e32 v0, 1, v5
	v_lshlrev_b32_e32 v1, 30, v5
	v_lshlrev_b32_e32 v2, 29, v5
	v_lshlrev_b32_e32 v3, 28, v5
	v_lshlrev_b32_e32 v6, 27, v5
	v_add_co_u32 v0, s12, v0, -1
	s_delay_alu instid0(VALU_DEP_1)
	v_cndmask_b32_e64 v4, 0, 1, s12
	v_not_b32_e32 v26, v1
	v_cmp_gt_i32_e64 s13, 0, v1
	v_not_b32_e32 v1, v2
	v_lshlrev_b32_e32 v7, 26, v5
	v_cmp_ne_u32_e64 s12, 0, v4
	v_ashrrev_i32_e32 v26, 31, v26
	v_lshlrev_b32_e32 v25, 25, v5
	v_ashrrev_i32_e32 v1, 31, v1
	v_lshlrev_b32_e32 v4, 24, v5
	v_xor_b32_e32 v0, s12, v0
	v_cmp_gt_i32_e64 s12, 0, v2
	v_not_b32_e32 v2, v3
	v_xor_b32_e32 v26, s13, v26
	v_cmp_gt_i32_e64 s13, 0, v3
	v_and_b32_e32 v0, exec_lo, v0
	v_not_b32_e32 v3, v6
	v_ashrrev_i32_e32 v2, 31, v2
	v_xor_b32_e32 v1, s12, v1
	v_cmp_gt_i32_e64 s12, 0, v6
	v_and_b32_e32 v0, v0, v26
	v_not_b32_e32 v6, v7
	v_ashrrev_i32_e32 v3, 31, v3
	v_xor_b32_e32 v2, s13, v2
	v_cmp_gt_i32_e64 s13, 0, v7
	v_and_b32_e32 v0, v0, v1
	;; [unrolled: 5-line block ×4, first 2 shown]
	v_ashrrev_i32_e32 v2, 31, v2
	v_xor_b32_e32 v1, s12, v1
	s_mov_b32 s12, 0
	s_delay_alu instid0(VALU_DEP_3) | instskip(NEXT) | instid1(VALU_DEP_3)
	v_and_b32_e32 v0, v0, v6
	v_xor_b32_e32 v3, s13, v2
	s_mov_b32 s14, s12
	s_mov_b32 s13, s12
	;; [unrolled: 1-line block ×3, first 2 shown]
	v_dual_mov_b32 v1, s12 :: v_dual_and_b32 v0, v0, v1
	v_mov_b32_e32 v2, s13
	s_delay_alu instid0(VALU_DEP_2)
	v_dual_mov_b32 v3, s14 :: v_dual_and_b32 v0, v0, v3
	v_mov_b32_e32 v4, s15
	ds_store_2addr_b64 v16, v[1:2], v[3:4] offset0:4 offset1:5
	ds_store_2addr_b64 v12, v[1:2], v[3:4] offset0:2 offset1:3
	v_mbcnt_lo_u32_b32 v25, v0, 0
	v_lshlrev_b32_e32 v1, 3, v5
	v_cmp_ne_u32_e64 s13, 0, v0
	s_waitcnt lgkmcnt(0)
	s_barrier
	v_cmp_eq_u32_e64 s12, 0, v25
	v_add_lshl_u32 v26, v1, v11, 2
	buffer_gl0_inv
	; wave barrier
	s_and_b32 s13, s13, s12
	s_delay_alu instid0(SALU_CYCLE_1)
	s_and_saveexec_b32 s12, s13
	s_cbranch_execz .LBB12_49
; %bb.48:
	v_bcnt_u32_b32 v0, v0, 0
	ds_store_b32 v26, v0 offset:32
.LBB12_49:
	s_or_b32 exec_lo, exec_lo, s12
	v_lshrrev_b16 v0, 8, v10
	; wave barrier
	s_delay_alu instid0(VALU_DEP_1) | instskip(NEXT) | instid1(VALU_DEP_1)
	v_and_b32_e32 v0, 0xffff, v0
	v_and_b32_e32 v1, 1, v0
	v_lshlrev_b32_e32 v2, 30, v0
	v_lshlrev_b32_e32 v3, 29, v0
	;; [unrolled: 1-line block ×4, first 2 shown]
	v_add_co_u32 v1, s12, v1, -1
	s_delay_alu instid0(VALU_DEP_1)
	v_cndmask_b32_e64 v5, 0, 1, s12
	v_not_b32_e32 v28, v2
	v_cmp_gt_i32_e64 s13, 0, v2
	v_not_b32_e32 v2, v3
	v_lshlrev_b32_e32 v7, 26, v0
	v_cmp_ne_u32_e64 s12, 0, v5
	v_ashrrev_i32_e32 v28, 31, v28
	v_lshlrev_b32_e32 v27, 25, v0
	v_ashrrev_i32_e32 v2, 31, v2
	v_lshlrev_b32_e32 v5, 24, v0
	v_xor_b32_e32 v1, s12, v1
	v_cmp_gt_i32_e64 s12, 0, v3
	v_not_b32_e32 v3, v4
	v_xor_b32_e32 v28, s13, v28
	v_cmp_gt_i32_e64 s13, 0, v4
	v_and_b32_e32 v1, exec_lo, v1
	v_not_b32_e32 v4, v6
	v_ashrrev_i32_e32 v3, 31, v3
	v_xor_b32_e32 v2, s12, v2
	v_cmp_gt_i32_e64 s12, 0, v6
	v_and_b32_e32 v1, v1, v28
	v_not_b32_e32 v6, v7
	v_ashrrev_i32_e32 v4, 31, v4
	v_xor_b32_e32 v3, s13, v3
	v_cmp_gt_i32_e64 s13, 0, v7
	v_and_b32_e32 v1, v1, v2
	;; [unrolled: 5-line block ×3, first 2 shown]
	v_not_b32_e32 v3, v5
	v_ashrrev_i32_e32 v2, 31, v2
	v_xor_b32_e32 v6, s13, v6
	v_lshlrev_b32_e32 v0, 3, v0
	v_and_b32_e32 v1, v1, v4
	v_cmp_gt_i32_e64 s13, 0, v5
	v_ashrrev_i32_e32 v3, 31, v3
	v_xor_b32_e32 v2, s12, v2
	v_add_lshl_u32 v29, v0, v11, 2
	v_and_b32_e32 v1, v1, v6
	s_delay_alu instid0(VALU_DEP_4) | instskip(SKIP_2) | instid1(VALU_DEP_1)
	v_xor_b32_e32 v0, s13, v3
	ds_load_b32 v27, v29 offset:32
	v_and_b32_e32 v1, v1, v2
	; wave barrier
	v_and_b32_e32 v0, v1, v0
	s_delay_alu instid0(VALU_DEP_1) | instskip(SKIP_1) | instid1(VALU_DEP_2)
	v_mbcnt_lo_u32_b32 v28, v0, 0
	v_cmp_ne_u32_e64 s13, 0, v0
	v_cmp_eq_u32_e64 s12, 0, v28
	s_delay_alu instid0(VALU_DEP_1) | instskip(NEXT) | instid1(SALU_CYCLE_1)
	s_and_b32 s13, s13, s12
	s_and_saveexec_b32 s12, s13
	s_cbranch_execz .LBB12_51
; %bb.50:
	s_waitcnt lgkmcnt(0)
	v_bcnt_u32_b32 v0, v0, v27
	ds_store_b32 v29, v0 offset:32
.LBB12_51:
	s_or_b32 exec_lo, exec_lo, s12
	v_lshrrev_b16 v0, 8, v13
	; wave barrier
	s_delay_alu instid0(VALU_DEP_1) | instskip(NEXT) | instid1(VALU_DEP_1)
	v_and_b32_e32 v0, 0xffff, v0
	v_and_b32_e32 v1, 1, v0
	v_lshlrev_b32_e32 v2, 30, v0
	v_lshlrev_b32_e32 v3, 29, v0
	;; [unrolled: 1-line block ×4, first 2 shown]
	v_add_co_u32 v1, s12, v1, -1
	s_delay_alu instid0(VALU_DEP_1)
	v_cndmask_b32_e64 v5, 0, 1, s12
	v_not_b32_e32 v31, v2
	v_cmp_gt_i32_e64 s13, 0, v2
	v_not_b32_e32 v2, v3
	v_lshlrev_b32_e32 v7, 26, v0
	v_cmp_ne_u32_e64 s12, 0, v5
	v_ashrrev_i32_e32 v31, 31, v31
	v_lshlrev_b32_e32 v30, 25, v0
	v_ashrrev_i32_e32 v2, 31, v2
	v_lshlrev_b32_e32 v5, 24, v0
	v_xor_b32_e32 v1, s12, v1
	v_cmp_gt_i32_e64 s12, 0, v3
	v_not_b32_e32 v3, v4
	v_xor_b32_e32 v31, s13, v31
	v_cmp_gt_i32_e64 s13, 0, v4
	v_and_b32_e32 v1, exec_lo, v1
	v_not_b32_e32 v4, v6
	v_ashrrev_i32_e32 v3, 31, v3
	v_xor_b32_e32 v2, s12, v2
	v_cmp_gt_i32_e64 s12, 0, v6
	v_and_b32_e32 v1, v1, v31
	v_not_b32_e32 v6, v7
	v_ashrrev_i32_e32 v4, 31, v4
	v_xor_b32_e32 v3, s13, v3
	v_cmp_gt_i32_e64 s13, 0, v7
	v_and_b32_e32 v1, v1, v2
	;; [unrolled: 5-line block ×3, first 2 shown]
	v_not_b32_e32 v3, v5
	v_ashrrev_i32_e32 v2, 31, v2
	v_xor_b32_e32 v6, s13, v6
	v_lshlrev_b32_e32 v0, 3, v0
	v_and_b32_e32 v1, v1, v4
	v_cmp_gt_i32_e64 s13, 0, v5
	v_ashrrev_i32_e32 v3, 31, v3
	v_xor_b32_e32 v2, s12, v2
	v_add_lshl_u32 v32, v0, v11, 2
	v_and_b32_e32 v1, v1, v6
	s_delay_alu instid0(VALU_DEP_4) | instskip(SKIP_2) | instid1(VALU_DEP_1)
	v_xor_b32_e32 v0, s13, v3
	ds_load_b32 v30, v32 offset:32
	v_and_b32_e32 v1, v1, v2
	; wave barrier
	v_and_b32_e32 v0, v1, v0
	s_delay_alu instid0(VALU_DEP_1) | instskip(SKIP_1) | instid1(VALU_DEP_2)
	v_mbcnt_lo_u32_b32 v31, v0, 0
	v_cmp_ne_u32_e64 s13, 0, v0
	v_cmp_eq_u32_e64 s12, 0, v31
	s_delay_alu instid0(VALU_DEP_1) | instskip(NEXT) | instid1(SALU_CYCLE_1)
	s_and_b32 s13, s13, s12
	s_and_saveexec_b32 s12, s13
	s_cbranch_execz .LBB12_53
; %bb.52:
	s_waitcnt lgkmcnt(0)
	v_bcnt_u32_b32 v0, v0, v30
	ds_store_b32 v32, v0 offset:32
.LBB12_53:
	s_or_b32 exec_lo, exec_lo, s12
	v_lshrrev_b16 v0, 8, v14
	; wave barrier
	s_delay_alu instid0(VALU_DEP_1) | instskip(NEXT) | instid1(VALU_DEP_1)
	v_and_b32_e32 v0, 0xffff, v0
	v_and_b32_e32 v1, 1, v0
	v_lshlrev_b32_e32 v2, 30, v0
	v_lshlrev_b32_e32 v3, 29, v0
	;; [unrolled: 1-line block ×4, first 2 shown]
	v_add_co_u32 v1, s12, v1, -1
	s_delay_alu instid0(VALU_DEP_1)
	v_cndmask_b32_e64 v5, 0, 1, s12
	v_not_b32_e32 v34, v2
	v_cmp_gt_i32_e64 s13, 0, v2
	v_not_b32_e32 v2, v3
	v_lshlrev_b32_e32 v7, 26, v0
	v_cmp_ne_u32_e64 s12, 0, v5
	v_ashrrev_i32_e32 v34, 31, v34
	v_lshlrev_b32_e32 v33, 25, v0
	v_ashrrev_i32_e32 v2, 31, v2
	v_lshlrev_b32_e32 v5, 24, v0
	v_xor_b32_e32 v1, s12, v1
	v_cmp_gt_i32_e64 s12, 0, v3
	v_not_b32_e32 v3, v4
	v_xor_b32_e32 v34, s13, v34
	v_cmp_gt_i32_e64 s13, 0, v4
	v_and_b32_e32 v1, exec_lo, v1
	v_not_b32_e32 v4, v6
	v_ashrrev_i32_e32 v3, 31, v3
	v_xor_b32_e32 v2, s12, v2
	v_cmp_gt_i32_e64 s12, 0, v6
	v_and_b32_e32 v1, v1, v34
	v_not_b32_e32 v6, v7
	v_ashrrev_i32_e32 v4, 31, v4
	v_xor_b32_e32 v3, s13, v3
	v_cmp_gt_i32_e64 s13, 0, v7
	v_and_b32_e32 v1, v1, v2
	;; [unrolled: 5-line block ×3, first 2 shown]
	v_not_b32_e32 v3, v5
	v_ashrrev_i32_e32 v2, 31, v2
	v_xor_b32_e32 v6, s13, v6
	v_lshlrev_b32_e32 v0, 3, v0
	v_and_b32_e32 v1, v1, v4
	v_cmp_gt_i32_e64 s13, 0, v5
	v_ashrrev_i32_e32 v3, 31, v3
	v_xor_b32_e32 v2, s12, v2
	v_add_lshl_u32 v35, v0, v11, 2
	v_and_b32_e32 v1, v1, v6
	s_delay_alu instid0(VALU_DEP_4) | instskip(SKIP_2) | instid1(VALU_DEP_1)
	v_xor_b32_e32 v0, s13, v3
	ds_load_b32 v33, v35 offset:32
	v_and_b32_e32 v1, v1, v2
	; wave barrier
	v_and_b32_e32 v0, v1, v0
	s_delay_alu instid0(VALU_DEP_1) | instskip(SKIP_1) | instid1(VALU_DEP_2)
	v_mbcnt_lo_u32_b32 v34, v0, 0
	v_cmp_ne_u32_e64 s13, 0, v0
	v_cmp_eq_u32_e64 s12, 0, v34
	s_delay_alu instid0(VALU_DEP_1) | instskip(NEXT) | instid1(SALU_CYCLE_1)
	s_and_b32 s13, s13, s12
	s_and_saveexec_b32 s12, s13
	s_cbranch_execz .LBB12_55
; %bb.54:
	s_waitcnt lgkmcnt(0)
	v_bcnt_u32_b32 v0, v0, v33
	ds_store_b32 v35, v0 offset:32
.LBB12_55:
	s_or_b32 exec_lo, exec_lo, s12
	v_lshrrev_b16 v0, 8, v18
	; wave barrier
	s_delay_alu instid0(VALU_DEP_1) | instskip(NEXT) | instid1(VALU_DEP_1)
	v_and_b32_e32 v0, 0xffff, v0
	v_and_b32_e32 v1, 1, v0
	v_lshlrev_b32_e32 v2, 30, v0
	v_lshlrev_b32_e32 v3, 29, v0
	;; [unrolled: 1-line block ×4, first 2 shown]
	v_add_co_u32 v1, s12, v1, -1
	s_delay_alu instid0(VALU_DEP_1)
	v_cndmask_b32_e64 v5, 0, 1, s12
	v_not_b32_e32 v37, v2
	v_cmp_gt_i32_e64 s13, 0, v2
	v_not_b32_e32 v2, v3
	v_lshlrev_b32_e32 v7, 26, v0
	v_cmp_ne_u32_e64 s12, 0, v5
	v_ashrrev_i32_e32 v37, 31, v37
	v_lshlrev_b32_e32 v36, 25, v0
	v_ashrrev_i32_e32 v2, 31, v2
	v_lshlrev_b32_e32 v5, 24, v0
	v_xor_b32_e32 v1, s12, v1
	v_cmp_gt_i32_e64 s12, 0, v3
	v_not_b32_e32 v3, v4
	v_xor_b32_e32 v37, s13, v37
	v_cmp_gt_i32_e64 s13, 0, v4
	v_and_b32_e32 v1, exec_lo, v1
	v_not_b32_e32 v4, v6
	v_ashrrev_i32_e32 v3, 31, v3
	v_xor_b32_e32 v2, s12, v2
	v_cmp_gt_i32_e64 s12, 0, v6
	v_and_b32_e32 v1, v1, v37
	v_not_b32_e32 v6, v7
	v_ashrrev_i32_e32 v4, 31, v4
	v_xor_b32_e32 v3, s13, v3
	v_cmp_gt_i32_e64 s13, 0, v7
	v_and_b32_e32 v1, v1, v2
	;; [unrolled: 5-line block ×3, first 2 shown]
	v_not_b32_e32 v3, v5
	v_ashrrev_i32_e32 v2, 31, v2
	v_xor_b32_e32 v6, s13, v6
	v_lshlrev_b32_e32 v0, 3, v0
	v_and_b32_e32 v1, v1, v4
	v_cmp_gt_i32_e64 s13, 0, v5
	v_ashrrev_i32_e32 v3, 31, v3
	v_xor_b32_e32 v2, s12, v2
	v_add_lshl_u32 v38, v0, v11, 2
	v_and_b32_e32 v1, v1, v6
	s_delay_alu instid0(VALU_DEP_4) | instskip(SKIP_2) | instid1(VALU_DEP_1)
	v_xor_b32_e32 v0, s13, v3
	ds_load_b32 v36, v38 offset:32
	v_and_b32_e32 v1, v1, v2
	; wave barrier
	v_and_b32_e32 v0, v1, v0
	s_delay_alu instid0(VALU_DEP_1) | instskip(SKIP_1) | instid1(VALU_DEP_2)
	v_mbcnt_lo_u32_b32 v37, v0, 0
	v_cmp_ne_u32_e64 s13, 0, v0
	v_cmp_eq_u32_e64 s12, 0, v37
	s_delay_alu instid0(VALU_DEP_1) | instskip(NEXT) | instid1(SALU_CYCLE_1)
	s_and_b32 s13, s13, s12
	s_and_saveexec_b32 s12, s13
	s_cbranch_execz .LBB12_57
; %bb.56:
	s_waitcnt lgkmcnt(0)
	v_bcnt_u32_b32 v0, v0, v36
	ds_store_b32 v38, v0 offset:32
.LBB12_57:
	s_or_b32 exec_lo, exec_lo, s12
	v_lshrrev_b16 v0, 8, v22
	; wave barrier
	s_delay_alu instid0(VALU_DEP_1) | instskip(NEXT) | instid1(VALU_DEP_1)
	v_and_b32_e32 v0, 0xffff, v0
	v_and_b32_e32 v1, 1, v0
	v_lshlrev_b32_e32 v2, 30, v0
	v_lshlrev_b32_e32 v3, 29, v0
	;; [unrolled: 1-line block ×4, first 2 shown]
	v_add_co_u32 v1, s12, v1, -1
	s_delay_alu instid0(VALU_DEP_1)
	v_cndmask_b32_e64 v5, 0, 1, s12
	v_not_b32_e32 v40, v2
	v_cmp_gt_i32_e64 s13, 0, v2
	v_not_b32_e32 v2, v3
	v_lshlrev_b32_e32 v7, 26, v0
	v_cmp_ne_u32_e64 s12, 0, v5
	v_ashrrev_i32_e32 v40, 31, v40
	v_lshlrev_b32_e32 v39, 25, v0
	v_ashrrev_i32_e32 v2, 31, v2
	v_lshlrev_b32_e32 v5, 24, v0
	v_xor_b32_e32 v1, s12, v1
	v_cmp_gt_i32_e64 s12, 0, v3
	v_not_b32_e32 v3, v4
	v_xor_b32_e32 v40, s13, v40
	v_cmp_gt_i32_e64 s13, 0, v4
	v_and_b32_e32 v1, exec_lo, v1
	v_not_b32_e32 v4, v6
	v_ashrrev_i32_e32 v3, 31, v3
	v_xor_b32_e32 v2, s12, v2
	v_cmp_gt_i32_e64 s12, 0, v6
	v_and_b32_e32 v1, v1, v40
	v_not_b32_e32 v6, v7
	v_ashrrev_i32_e32 v4, 31, v4
	v_xor_b32_e32 v3, s13, v3
	v_cmp_gt_i32_e64 s13, 0, v7
	v_and_b32_e32 v1, v1, v2
	;; [unrolled: 5-line block ×3, first 2 shown]
	v_not_b32_e32 v3, v5
	v_ashrrev_i32_e32 v2, 31, v2
	v_xor_b32_e32 v6, s13, v6
	v_lshlrev_b32_e32 v0, 3, v0
	v_and_b32_e32 v1, v1, v4
	v_cmp_gt_i32_e64 s13, 0, v5
	v_ashrrev_i32_e32 v3, 31, v3
	v_xor_b32_e32 v2, s12, v2
	v_add_lshl_u32 v41, v0, v11, 2
	v_and_b32_e32 v1, v1, v6
	s_delay_alu instid0(VALU_DEP_4) | instskip(SKIP_2) | instid1(VALU_DEP_1)
	v_xor_b32_e32 v0, s13, v3
	ds_load_b32 v39, v41 offset:32
	v_and_b32_e32 v1, v1, v2
	; wave barrier
	v_and_b32_e32 v0, v1, v0
	s_delay_alu instid0(VALU_DEP_1) | instskip(SKIP_1) | instid1(VALU_DEP_2)
	v_mbcnt_lo_u32_b32 v40, v0, 0
	v_cmp_ne_u32_e64 s13, 0, v0
	v_cmp_eq_u32_e64 s12, 0, v40
	s_delay_alu instid0(VALU_DEP_1) | instskip(NEXT) | instid1(SALU_CYCLE_1)
	s_and_b32 s13, s13, s12
	s_and_saveexec_b32 s12, s13
	s_cbranch_execz .LBB12_59
; %bb.58:
	s_waitcnt lgkmcnt(0)
	v_bcnt_u32_b32 v0, v0, v39
	ds_store_b32 v41, v0 offset:32
.LBB12_59:
	s_or_b32 exec_lo, exec_lo, s12
	v_lshrrev_b16 v0, 8, v23
	; wave barrier
	s_delay_alu instid0(VALU_DEP_1) | instskip(NEXT) | instid1(VALU_DEP_1)
	v_and_b32_e32 v0, 0xffff, v0
	v_and_b32_e32 v1, 1, v0
	v_lshlrev_b32_e32 v2, 30, v0
	v_lshlrev_b32_e32 v3, 29, v0
	;; [unrolled: 1-line block ×4, first 2 shown]
	v_add_co_u32 v1, s12, v1, -1
	s_delay_alu instid0(VALU_DEP_1)
	v_cndmask_b32_e64 v5, 0, 1, s12
	v_not_b32_e32 v43, v2
	v_cmp_gt_i32_e64 s13, 0, v2
	v_not_b32_e32 v2, v3
	v_lshlrev_b32_e32 v7, 26, v0
	v_cmp_ne_u32_e64 s12, 0, v5
	v_ashrrev_i32_e32 v43, 31, v43
	v_lshlrev_b32_e32 v42, 25, v0
	v_ashrrev_i32_e32 v2, 31, v2
	v_lshlrev_b32_e32 v5, 24, v0
	v_xor_b32_e32 v1, s12, v1
	v_cmp_gt_i32_e64 s12, 0, v3
	v_not_b32_e32 v3, v4
	v_xor_b32_e32 v43, s13, v43
	v_cmp_gt_i32_e64 s13, 0, v4
	v_and_b32_e32 v1, exec_lo, v1
	v_not_b32_e32 v4, v6
	v_ashrrev_i32_e32 v3, 31, v3
	v_xor_b32_e32 v2, s12, v2
	v_cmp_gt_i32_e64 s12, 0, v6
	v_and_b32_e32 v1, v1, v43
	v_not_b32_e32 v6, v7
	v_ashrrev_i32_e32 v4, 31, v4
	v_xor_b32_e32 v3, s13, v3
	v_cmp_gt_i32_e64 s13, 0, v7
	v_and_b32_e32 v1, v1, v2
	;; [unrolled: 5-line block ×3, first 2 shown]
	v_not_b32_e32 v3, v5
	v_ashrrev_i32_e32 v2, 31, v2
	v_xor_b32_e32 v6, s13, v6
	v_lshlrev_b32_e32 v0, 3, v0
	v_and_b32_e32 v1, v1, v4
	v_cmp_gt_i32_e64 s13, 0, v5
	v_ashrrev_i32_e32 v3, 31, v3
	v_xor_b32_e32 v2, s12, v2
	v_add_lshl_u32 v43, v0, v11, 2
	v_and_b32_e32 v1, v1, v6
	s_delay_alu instid0(VALU_DEP_4) | instskip(SKIP_2) | instid1(VALU_DEP_1)
	v_xor_b32_e32 v0, s13, v3
	ds_load_b32 v11, v43 offset:32
	v_and_b32_e32 v1, v1, v2
	; wave barrier
	v_and_b32_e32 v0, v1, v0
	s_delay_alu instid0(VALU_DEP_1) | instskip(SKIP_1) | instid1(VALU_DEP_2)
	v_mbcnt_lo_u32_b32 v42, v0, 0
	v_cmp_ne_u32_e64 s13, 0, v0
	v_cmp_eq_u32_e64 s12, 0, v42
	s_delay_alu instid0(VALU_DEP_1) | instskip(NEXT) | instid1(SALU_CYCLE_1)
	s_and_b32 s13, s13, s12
	s_and_saveexec_b32 s12, s13
	s_cbranch_execz .LBB12_61
; %bb.60:
	s_waitcnt lgkmcnt(0)
	v_bcnt_u32_b32 v0, v0, v11
	ds_store_b32 v43, v0 offset:32
.LBB12_61:
	s_or_b32 exec_lo, exec_lo, s12
	; wave barrier
	s_waitcnt lgkmcnt(0)
	s_barrier
	buffer_gl0_inv
	ds_load_2addr_b64 v[4:7], v16 offset0:4 offset1:5
	ds_load_2addr_b64 v[0:3], v12 offset0:2 offset1:3
	s_waitcnt lgkmcnt(1)
	v_add_nc_u32_e32 v44, v5, v4
	s_delay_alu instid0(VALU_DEP_1) | instskip(SKIP_1) | instid1(VALU_DEP_1)
	v_add3_u32 v44, v44, v6, v7
	s_waitcnt lgkmcnt(0)
	v_add3_u32 v44, v44, v0, v1
	s_delay_alu instid0(VALU_DEP_1) | instskip(NEXT) | instid1(VALU_DEP_1)
	v_add3_u32 v3, v44, v2, v3
	v_mov_b32_dpp v44, v3 row_shr:1 row_mask:0xf bank_mask:0xf
	s_delay_alu instid0(VALU_DEP_1) | instskip(NEXT) | instid1(VALU_DEP_1)
	v_cndmask_b32_e64 v44, v44, 0, s2
	v_add_nc_u32_e32 v3, v44, v3
	s_delay_alu instid0(VALU_DEP_1) | instskip(NEXT) | instid1(VALU_DEP_1)
	v_mov_b32_dpp v44, v3 row_shr:2 row_mask:0xf bank_mask:0xf
	v_cndmask_b32_e64 v44, 0, v44, s3
	s_delay_alu instid0(VALU_DEP_1) | instskip(NEXT) | instid1(VALU_DEP_1)
	v_add_nc_u32_e32 v3, v3, v44
	v_mov_b32_dpp v44, v3 row_shr:4 row_mask:0xf bank_mask:0xf
	s_delay_alu instid0(VALU_DEP_1) | instskip(NEXT) | instid1(VALU_DEP_1)
	v_cndmask_b32_e64 v44, 0, v44, s4
	v_add_nc_u32_e32 v3, v3, v44
	s_delay_alu instid0(VALU_DEP_1) | instskip(NEXT) | instid1(VALU_DEP_1)
	v_mov_b32_dpp v44, v3 row_shr:8 row_mask:0xf bank_mask:0xf
	v_cndmask_b32_e64 v44, 0, v44, s5
	s_delay_alu instid0(VALU_DEP_1) | instskip(SKIP_3) | instid1(VALU_DEP_1)
	v_add_nc_u32_e32 v3, v3, v44
	ds_swizzle_b32 v44, v3 offset:swizzle(BROADCAST,32,15)
	s_waitcnt lgkmcnt(0)
	v_cndmask_b32_e64 v44, v44, 0, s8
	v_add_nc_u32_e32 v3, v3, v44
	s_and_saveexec_b32 s2, s7
	s_cbranch_execz .LBB12_63
; %bb.62:
	ds_store_b32 v17, v3
.LBB12_63:
	s_or_b32 exec_lo, exec_lo, s2
	s_waitcnt lgkmcnt(0)
	s_barrier
	buffer_gl0_inv
	s_and_saveexec_b32 s2, s6
	s_cbranch_execz .LBB12_65
; %bb.64:
	ds_load_b32 v17, v21
	s_waitcnt lgkmcnt(0)
	v_mov_b32_dpp v44, v17 row_shr:1 row_mask:0xf bank_mask:0xf
	s_delay_alu instid0(VALU_DEP_1) | instskip(NEXT) | instid1(VALU_DEP_1)
	v_cndmask_b32_e64 v44, v44, 0, s1
	v_add_nc_u32_e32 v17, v44, v17
	s_delay_alu instid0(VALU_DEP_1) | instskip(NEXT) | instid1(VALU_DEP_1)
	v_mov_b32_dpp v44, v17 row_shr:2 row_mask:0xf bank_mask:0xf
	v_cndmask_b32_e64 v44, 0, v44, s0
	s_delay_alu instid0(VALU_DEP_1) | instskip(NEXT) | instid1(VALU_DEP_1)
	v_add_nc_u32_e32 v17, v17, v44
	v_mov_b32_dpp v44, v17 row_shr:4 row_mask:0xf bank_mask:0xf
	s_delay_alu instid0(VALU_DEP_1) | instskip(NEXT) | instid1(VALU_DEP_1)
	v_cndmask_b32_e32 v44, 0, v44, vcc_lo
	v_add_nc_u32_e32 v17, v17, v44
	ds_store_b32 v21, v17
.LBB12_65:
	s_or_b32 exec_lo, exec_lo, s2
	v_mov_b32_e32 v17, 0
	s_waitcnt lgkmcnt(0)
	s_barrier
	buffer_gl0_inv
	s_and_saveexec_b32 s0, s9
	s_cbranch_execz .LBB12_67
; %bb.66:
	ds_load_b32 v17, v20
.LBB12_67:
	s_or_b32 exec_lo, exec_lo, s0
	s_waitcnt lgkmcnt(0)
	v_add_nc_u32_e32 v3, v17, v3
	v_lshlrev_b32_e32 v21, 1, v33
	v_lshlrev_b32_e32 v11, 1, v11
	ds_bpermute_b32 v3, v19, v3
	s_waitcnt lgkmcnt(0)
	v_cndmask_b32_e64 v3, v3, v17, s10
	v_lshlrev_b32_e32 v17, 1, v31
	s_delay_alu instid0(VALU_DEP_2) | instskip(NEXT) | instid1(VALU_DEP_1)
	v_cndmask_b32_e64 v3, v3, 0, s11
	v_add_nc_u32_e32 v4, v3, v4
	s_delay_alu instid0(VALU_DEP_1) | instskip(NEXT) | instid1(VALU_DEP_1)
	v_add_nc_u32_e32 v5, v4, v5
	v_add_nc_u32_e32 v6, v5, v6
	s_delay_alu instid0(VALU_DEP_1) | instskip(SKIP_2) | instid1(VALU_DEP_3)
	v_add_nc_u32_e32 v19, v6, v7
	v_lshlrev_b32_e32 v7, 1, v25
	v_lshlrev_b32_e32 v25, 1, v37
	v_add_nc_u32_e32 v20, v19, v0
	s_delay_alu instid0(VALU_DEP_1) | instskip(NEXT) | instid1(VALU_DEP_1)
	v_add_nc_u32_e32 v0, v20, v1
	v_add_nc_u32_e32 v1, v0, v2
	ds_store_2addr_b64 v16, v[3:4], v[5:6] offset0:4 offset1:5
	ds_store_2addr_b64 v12, v[19:20], v[0:1] offset0:2 offset1:3
	s_waitcnt lgkmcnt(0)
	s_barrier
	buffer_gl0_inv
	ds_load_b32 v0, v32 offset:32
	ds_load_b32 v1, v29 offset:32
	;; [unrolled: 1-line block ×7, first 2 shown]
	v_lshlrev_b32_e32 v12, 1, v28
	v_lshlrev_b32_e32 v16, 1, v27
	;; [unrolled: 1-line block ×8, first 2 shown]
	s_waitcnt lgkmcnt(0)
	s_barrier
	buffer_gl0_inv
	v_lshlrev_b32_e32 v0, 1, v0
	v_lshlrev_b32_e32 v1, 1, v1
	v_lshl_add_u32 v2, v2, 1, v7
	v_lshlrev_b32_e32 v3, 1, v3
	v_lshlrev_b32_e32 v4, 1, v4
	;; [unrolled: 1-line block ×4, first 2 shown]
	v_add3_u32 v1, v12, v16, v1
	v_add3_u32 v0, v17, v19, v0
	ds_store_b16 v2, v24
	v_add3_u32 v5, v25, v26, v5
	v_add3_u32 v2, v20, v21, v6
	;; [unrolled: 1-line block ×4, first 2 shown]
	ds_store_b16 v1, v10
	ds_store_b16 v0, v13
	;; [unrolled: 1-line block ×6, first 2 shown]
	s_waitcnt lgkmcnt(0)
	s_barrier
.LBB12_68:
	s_waitcnt lgkmcnt(0)
	buffer_gl0_inv
	ds_load_u16 v3, v15 offset:12
	ds_load_b96 v[0:2], v15
	s_waitcnt lgkmcnt(1)
	global_store_b16 v[8:9], v3, off offset:12
	s_waitcnt lgkmcnt(0)
	global_store_b96 v[8:9], v[0:2], off
	s_nop 0
	s_sendmsg sendmsg(MSG_DEALLOC_VGPRS)
	s_endpgm
	.section	.rodata,"a",@progbits
	.p2align	6, 0x0
	.amdhsa_kernel _Z15sort_key_kernelILj256ELj7ELb0ELb0EtEvPT3_jj
		.amdhsa_group_segment_fixed_size 8224
		.amdhsa_private_segment_fixed_size 0
		.amdhsa_kernarg_size 272
		.amdhsa_user_sgpr_count 15
		.amdhsa_user_sgpr_dispatch_ptr 0
		.amdhsa_user_sgpr_queue_ptr 0
		.amdhsa_user_sgpr_kernarg_segment_ptr 1
		.amdhsa_user_sgpr_dispatch_id 0
		.amdhsa_user_sgpr_private_segment_size 0
		.amdhsa_wavefront_size32 1
		.amdhsa_uses_dynamic_stack 0
		.amdhsa_enable_private_segment 0
		.amdhsa_system_sgpr_workgroup_id_x 1
		.amdhsa_system_sgpr_workgroup_id_y 0
		.amdhsa_system_sgpr_workgroup_id_z 0
		.amdhsa_system_sgpr_workgroup_info 0
		.amdhsa_system_vgpr_workitem_id 2
		.amdhsa_next_free_vgpr 63
		.amdhsa_next_free_sgpr 22
		.amdhsa_reserve_vcc 1
		.amdhsa_float_round_mode_32 0
		.amdhsa_float_round_mode_16_64 0
		.amdhsa_float_denorm_mode_32 3
		.amdhsa_float_denorm_mode_16_64 3
		.amdhsa_dx10_clamp 1
		.amdhsa_ieee_mode 1
		.amdhsa_fp16_overflow 0
		.amdhsa_workgroup_processor_mode 1
		.amdhsa_memory_ordered 1
		.amdhsa_forward_progress 0
		.amdhsa_shared_vgpr_count 0
		.amdhsa_exception_fp_ieee_invalid_op 0
		.amdhsa_exception_fp_denorm_src 0
		.amdhsa_exception_fp_ieee_div_zero 0
		.amdhsa_exception_fp_ieee_overflow 0
		.amdhsa_exception_fp_ieee_underflow 0
		.amdhsa_exception_fp_ieee_inexact 0
		.amdhsa_exception_int_div_zero 0
	.end_amdhsa_kernel
	.section	.text._Z15sort_key_kernelILj256ELj7ELb0ELb0EtEvPT3_jj,"axG",@progbits,_Z15sort_key_kernelILj256ELj7ELb0ELb0EtEvPT3_jj,comdat
.Lfunc_end12:
	.size	_Z15sort_key_kernelILj256ELj7ELb0ELb0EtEvPT3_jj, .Lfunc_end12-_Z15sort_key_kernelILj256ELj7ELb0ELb0EtEvPT3_jj
                                        ; -- End function
	.section	.AMDGPU.csdata,"",@progbits
; Kernel info:
; codeLenInByte = 10748
; NumSgprs: 24
; NumVgprs: 63
; ScratchSize: 0
; MemoryBound: 0
; FloatMode: 240
; IeeeMode: 1
; LDSByteSize: 8224 bytes/workgroup (compile time only)
; SGPRBlocks: 2
; VGPRBlocks: 7
; NumSGPRsForWavesPerEU: 24
; NumVGPRsForWavesPerEU: 63
; Occupancy: 16
; WaveLimiterHint : 0
; COMPUTE_PGM_RSRC2:SCRATCH_EN: 0
; COMPUTE_PGM_RSRC2:USER_SGPR: 15
; COMPUTE_PGM_RSRC2:TRAP_HANDLER: 0
; COMPUTE_PGM_RSRC2:TGID_X_EN: 1
; COMPUTE_PGM_RSRC2:TGID_Y_EN: 0
; COMPUTE_PGM_RSRC2:TGID_Z_EN: 0
; COMPUTE_PGM_RSRC2:TIDIG_COMP_CNT: 2
	.section	.text._Z15sort_key_kernelILj128ELj4ELb0ELb0EiEvPT3_jj,"axG",@progbits,_Z15sort_key_kernelILj128ELj4ELb0ELb0EiEvPT3_jj,comdat
	.protected	_Z15sort_key_kernelILj128ELj4ELb0ELb0EiEvPT3_jj ; -- Begin function _Z15sort_key_kernelILj128ELj4ELb0ELb0EiEvPT3_jj
	.globl	_Z15sort_key_kernelILj128ELj4ELb0ELb0EiEvPT3_jj
	.p2align	8
	.type	_Z15sort_key_kernelILj128ELj4ELb0ELb0EiEvPT3_jj,@function
_Z15sort_key_kernelILj128ELj4ELb0ELb0EiEvPT3_jj: ; @_Z15sort_key_kernelILj128ELj4ELb0ELb0EiEvPT3_jj
; %bb.0:
	s_load_b128 s[16:19], s[0:1], 0x0
	v_and_b32_e32 v10, 0x3ff, v0
	s_mov_b32 s21, 0
	s_lshl_b32 s20, s15, 9
	v_mbcnt_lo_u32_b32 v17, -1, 0
	s_lshl_b64 s[2:3], s[20:21], 2
	v_lshlrev_b32_e32 v5, 4, v10
	v_lshlrev_b32_e32 v15, 2, v10
	v_bfe_u32 v25, v0, 10, 10
	v_lshrrev_b32_e32 v6, 2, v17
	v_and_b32_e32 v18, 3, v17
	v_and_b32_e32 v28, 28, v17
	v_bfe_u32 v27, v0, 20, 10
	v_and_b32_e32 v21, 15, v17
	v_and_b32_e32 v22, 16, v17
	v_add_nc_u32_e32 v20, -1, v17
	v_cmp_eq_u32_e64 s6, 0, v17
	v_cmp_eq_u32_e64 s4, 2, v18
	;; [unrolled: 1-line block ×3, first 2 shown]
	v_or_b32_e32 v30, 32, v28
	s_waitcnt lgkmcnt(0)
	s_add_u32 s12, s16, s2
	s_addc_u32 s13, s17, s3
	s_cmp_lg_u32 s18, 0
	global_load_b128 v[1:4], v5, s[12:13]
	s_cselect_b32 s11, -1, 0
	s_cmp_lg_u32 s19, 32
	v_add_co_u32 v8, s12, s12, v5
	s_cselect_b32 s14, -1, 0
	v_cmp_eq_u32_e64 s3, 3, v18
	v_cmp_eq_u32_e64 s2, 0, v18
	v_lshlrev_b32_e32 v29, 2, v6
	v_lshlrev_b32_e32 v16, 5, v10
	v_and_b32_e32 v26, 0x3e0, v10
	v_cmp_gt_u32_e64 s7, 4, v10
	v_cmp_lt_u32_e64 s8, 31, v10
	v_cmp_eq_u32_e64 s9, 0, v10
	v_lshrrev_b32_e32 v23, 3, v10
	v_mul_i32_i24_e32 v19, 0xffffffe4, v10
	v_cmp_lt_u32_e64 s10, 1, v18
	v_add_co_ci_u32_e64 v9, null, s13, 0, s12
	v_and_or_b32 v24, 0xf80, v15, v17
	s_or_b32 s11, s11, s14
	s_delay_alu instid0(SALU_CYCLE_1)
	s_and_b32 vcc_lo, exec_lo, s11
	s_mov_b32 s11, -1
	s_waitcnt vmcnt(0)
	v_xor_b32_e32 v33, 0x80000000, v1
	v_xor_b32_e32 v34, 0x80000000, v2
	v_xor_b32_e32 v32, 0x80000000, v3
	v_xor_b32_e32 v31, 0x80000000, v4
	s_cbranch_vccz .LBB13_20
; %bb.1:
	s_barrier
	buffer_gl0_inv
	s_load_b32 s11, s[0:1], 0x1c
	ds_bpermute_b32 v0, v28, v33
	ds_bpermute_b32 v1, v28, v34
	;; [unrolled: 1-line block ×4, first 2 shown]
	ds_bpermute_b32 v6, v29, v33 offset:96
	ds_bpermute_b32 v7, v29, v34 offset:96
	;; [unrolled: 1-line block ×4, first 2 shown]
	ds_bpermute_b32 v11, v28, v32
	ds_bpermute_b32 v12, v30, v32
	ds_bpermute_b32 v13, v28, v32 offset:64
	ds_bpermute_b32 v14, v29, v32 offset:96
	ds_bpermute_b32 v36, v30, v31
	ds_bpermute_b32 v37, v28, v31 offset:64
	ds_bpermute_b32 v38, v29, v31 offset:96
	ds_bpermute_b32 v35, v28, v31
	v_cmp_gt_i32_e32 vcc_lo, 0, v20
	s_mov_b32 s20, s21
	s_mov_b32 s22, s21
	s_waitcnt lgkmcnt(0)
	s_lshr_b32 s12, s11, 16
	s_and_b32 s11, s11, 0xffff
	v_cndmask_b32_e64 v0, v0, v1, s5
	s_mov_b32 s23, s21
	v_cndmask_b32_e64 v1, v2, v3, s5
	v_cmp_lt_u32_e64 s13, 3, v21
	v_cndmask_b32_e64 v3, v6, v7, s5
	v_mad_u32_u24 v6, v27, s12, v25
	v_cndmask_b32_e64 v2, v4, v5, s5
	v_cndmask_b32_e64 v0, v0, v11, s4
	;; [unrolled: 1-line block ×3, first 2 shown]
	v_cmp_lt_u32_e64 s12, 1, v21
	v_mad_u64_u32 v[4:5], null, v6, s11, v[10:11]
	v_min_u32_e32 v5, 0x60, v26
	v_cndmask_b32_e64 v2, v2, v13, s4
	v_cndmask_b32_e64 v3, v3, v14, s4
	;; [unrolled: 1-line block ×3, first 2 shown]
	v_dual_mov_b32 v11, s20 :: v_dual_lshlrev_b32 v40, 2, v24
	v_lshrrev_b32_e32 v36, 5, v4
	v_or_b32_e32 v4, 31, v5
	v_cndmask_b32_e32 v5, v20, v17, vcc_lo
	v_cndmask_b32_e64 v2, v2, v37, s3
	v_dual_mov_b32 v12, s21 :: v_dual_and_b32 v37, 0x7c, v23
	v_cndmask_b32_e64 v3, v3, v38, s3
	s_delay_alu instid0(VALU_DEP_4)
	v_dual_mov_b32 v13, s22 :: v_dual_lshlrev_b32 v38, 2, v5
	v_cndmask_b32_e64 v0, v0, v35, s3
	v_or_b32_e32 v35, 16, v16
	v_cmp_eq_u32_e64 s11, 0, v21
	v_cmp_lt_u32_e64 s14, 7, v21
	v_cmp_eq_u32_e64 s15, 0, v22
	v_cmp_eq_u32_e64 s16, v4, v10
	v_dual_mov_b32 v14, s23 :: v_dual_add_nc_u32 v39, -4, v37
	v_add_nc_u32_e32 v41, v16, v19
	s_sub_i32 s20, s19, s18
	s_branch .LBB13_3
.LBB13_2:                               ;   in Loop: Header=BB13_3 Depth=1
	s_barrier
	buffer_gl0_inv
	ds_store_b32 v4, v42
	ds_store_b32 v5, v45
	;; [unrolled: 1-line block ×4, first 2 shown]
	s_waitcnt lgkmcnt(0)
	s_barrier
	buffer_gl0_inv
	ds_load_2addr_b32 v[0:1], v40 offset1:32
	ds_load_2addr_b32 v[2:3], v40 offset0:64 offset1:96
	s_add_i32 s20, s20, -8
	s_waitcnt lgkmcnt(0)
	s_barrier
	buffer_gl0_inv
	s_cbranch_execz .LBB13_19
.LBB13_3:                               ; =>This Inner Loop Header: Depth=1
	v_mov_b32_e32 v42, v0
	s_min_u32 s17, s20, 8
	ds_store_2addr_b64 v16, v[11:12], v[13:14] offset0:2 offset1:3
	ds_store_2addr_b64 v35, v[11:12], v[13:14] offset0:2 offset1:3
	s_lshl_b32 s17, -1, s17
	s_waitcnt lgkmcnt(0)
	v_lshrrev_b32_e32 v0, s18, v42
	s_not_b32 s21, s17
	s_barrier
	buffer_gl0_inv
	v_and_b32_e32 v4, s21, v0
	; wave barrier
	s_delay_alu instid0(VALU_DEP_1)
	v_and_b32_e32 v0, 1, v4
	v_lshlrev_b32_e32 v5, 30, v4
	v_lshlrev_b32_e32 v6, 29, v4
	;; [unrolled: 1-line block ×4, first 2 shown]
	v_add_co_u32 v0, s17, v0, -1
	s_delay_alu instid0(VALU_DEP_1)
	v_cndmask_b32_e64 v43, 0, 1, s17
	v_not_b32_e32 v47, v5
	v_cmp_gt_i32_e64 s17, 0, v5
	v_not_b32_e32 v5, v6
	v_lshlrev_b32_e32 v45, 26, v4
	v_cmp_ne_u32_e32 vcc_lo, 0, v43
	v_ashrrev_i32_e32 v47, 31, v47
	v_lshlrev_b32_e32 v43, 24, v4
	v_ashrrev_i32_e32 v5, 31, v5
	v_xor_b32_e32 v0, vcc_lo, v0
	v_cmp_gt_i32_e32 vcc_lo, 0, v6
	v_not_b32_e32 v6, v7
	v_xor_b32_e32 v47, s17, v47
	v_cmp_gt_i32_e64 s17, 0, v7
	v_and_b32_e32 v0, exec_lo, v0
	v_not_b32_e32 v7, v44
	v_ashrrev_i32_e32 v6, 31, v6
	v_xor_b32_e32 v5, vcc_lo, v5
	v_cmp_gt_i32_e32 vcc_lo, 0, v44
	v_and_b32_e32 v0, v0, v47
	v_not_b32_e32 v44, v45
	v_xor_b32_e32 v6, s17, v6
	v_cmp_gt_i32_e64 s17, 0, v45
	v_ashrrev_i32_e32 v7, 31, v7
	v_and_b32_e32 v0, v0, v5
	v_ashrrev_i32_e32 v44, 31, v44
	v_mov_b32_e32 v45, v1
	s_delay_alu instid0(VALU_DEP_4) | instskip(NEXT) | instid1(VALU_DEP_4)
	v_xor_b32_e32 v7, vcc_lo, v7
	v_and_b32_e32 v0, v0, v6
	v_not_b32_e32 v6, v43
	v_xor_b32_e32 v44, s17, v44
	v_cmp_gt_i32_e64 s17, 0, v43
	v_dual_mov_b32 v43, v3 :: v_dual_lshlrev_b32 v46, 25, v4
	v_and_b32_e32 v0, v0, v7
	v_ashrrev_i32_e32 v6, 31, v6
	v_lshl_add_u32 v1, v4, 2, v36
	s_delay_alu instid0(VALU_DEP_4)
	v_not_b32_e32 v5, v46
	v_cmp_gt_i32_e32 vcc_lo, 0, v46
	v_and_b32_e32 v0, v0, v44
	v_mov_b32_e32 v44, v2
	v_xor_b32_e32 v6, s17, v6
	v_ashrrev_i32_e32 v5, 31, v5
	v_lshl_add_u32 v47, v1, 2, 16
	s_delay_alu instid0(VALU_DEP_2) | instskip(NEXT) | instid1(VALU_DEP_1)
	v_xor_b32_e32 v5, vcc_lo, v5
	v_and_b32_e32 v0, v0, v5
	s_delay_alu instid0(VALU_DEP_1) | instskip(NEXT) | instid1(VALU_DEP_1)
	v_and_b32_e32 v0, v0, v6
	v_mbcnt_lo_u32_b32 v46, v0, 0
	v_cmp_ne_u32_e64 s17, 0, v0
	s_delay_alu instid0(VALU_DEP_2) | instskip(NEXT) | instid1(VALU_DEP_2)
	v_cmp_eq_u32_e32 vcc_lo, 0, v46
	s_and_b32 s22, s17, vcc_lo
	s_delay_alu instid0(SALU_CYCLE_1)
	s_and_saveexec_b32 s17, s22
	s_cbranch_execz .LBB13_5
; %bb.4:                                ;   in Loop: Header=BB13_3 Depth=1
	v_bcnt_u32_b32 v0, v0, 0
	ds_store_b32 v47, v0
.LBB13_5:                               ;   in Loop: Header=BB13_3 Depth=1
	s_or_b32 exec_lo, exec_lo, s17
	v_lshrrev_b32_e32 v0, s18, v45
	; wave barrier
	s_delay_alu instid0(VALU_DEP_1) | instskip(NEXT) | instid1(VALU_DEP_1)
	v_and_b32_e32 v0, s21, v0
	v_and_b32_e32 v1, 1, v0
	v_lshlrev_b32_e32 v2, 30, v0
	v_lshlrev_b32_e32 v3, 29, v0
	;; [unrolled: 1-line block ×4, first 2 shown]
	v_add_co_u32 v1, s17, v1, -1
	s_delay_alu instid0(VALU_DEP_1)
	v_cndmask_b32_e64 v5, 0, 1, s17
	v_not_b32_e32 v49, v2
	v_cmp_gt_i32_e64 s17, 0, v2
	v_not_b32_e32 v2, v3
	v_lshlrev_b32_e32 v7, 26, v0
	v_cmp_ne_u32_e32 vcc_lo, 0, v5
	v_ashrrev_i32_e32 v49, 31, v49
	v_lshlrev_b32_e32 v48, 25, v0
	v_ashrrev_i32_e32 v2, 31, v2
	v_lshlrev_b32_e32 v5, 24, v0
	v_xor_b32_e32 v1, vcc_lo, v1
	v_cmp_gt_i32_e32 vcc_lo, 0, v3
	v_not_b32_e32 v3, v4
	v_xor_b32_e32 v49, s17, v49
	v_cmp_gt_i32_e64 s17, 0, v4
	v_and_b32_e32 v1, exec_lo, v1
	v_not_b32_e32 v4, v6
	v_ashrrev_i32_e32 v3, 31, v3
	v_xor_b32_e32 v2, vcc_lo, v2
	v_cmp_gt_i32_e32 vcc_lo, 0, v6
	v_and_b32_e32 v1, v1, v49
	v_not_b32_e32 v6, v7
	v_ashrrev_i32_e32 v4, 31, v4
	v_xor_b32_e32 v3, s17, v3
	v_cmp_gt_i32_e64 s17, 0, v7
	v_and_b32_e32 v1, v1, v2
	v_not_b32_e32 v2, v48
	v_ashrrev_i32_e32 v6, 31, v6
	v_xor_b32_e32 v4, vcc_lo, v4
	v_cmp_gt_i32_e32 vcc_lo, 0, v48
	v_and_b32_e32 v1, v1, v3
	v_not_b32_e32 v3, v5
	v_ashrrev_i32_e32 v2, 31, v2
	v_xor_b32_e32 v6, s17, v6
	v_lshlrev_b32_e32 v0, 2, v0
	v_and_b32_e32 v1, v1, v4
	v_cmp_gt_i32_e64 s17, 0, v5
	v_ashrrev_i32_e32 v3, 31, v3
	v_xor_b32_e32 v2, vcc_lo, v2
	v_add_lshl_u32 v4, v0, v36, 2
	v_and_b32_e32 v1, v1, v6
	s_delay_alu instid0(VALU_DEP_4) | instskip(SKIP_3) | instid1(VALU_DEP_2)
	v_xor_b32_e32 v0, s17, v3
	ds_load_b32 v48, v4 offset:16
	v_and_b32_e32 v1, v1, v2
	v_add_nc_u32_e32 v50, 16, v4
	; wave barrier
	v_and_b32_e32 v0, v1, v0
	s_delay_alu instid0(VALU_DEP_1) | instskip(SKIP_1) | instid1(VALU_DEP_2)
	v_mbcnt_lo_u32_b32 v49, v0, 0
	v_cmp_ne_u32_e64 s17, 0, v0
	v_cmp_eq_u32_e32 vcc_lo, 0, v49
	s_delay_alu instid0(VALU_DEP_2) | instskip(NEXT) | instid1(SALU_CYCLE_1)
	s_and_b32 s22, s17, vcc_lo
	s_and_saveexec_b32 s17, s22
	s_cbranch_execz .LBB13_7
; %bb.6:                                ;   in Loop: Header=BB13_3 Depth=1
	s_waitcnt lgkmcnt(0)
	v_bcnt_u32_b32 v0, v0, v48
	ds_store_b32 v50, v0
.LBB13_7:                               ;   in Loop: Header=BB13_3 Depth=1
	s_or_b32 exec_lo, exec_lo, s17
	v_lshrrev_b32_e32 v0, s18, v44
	; wave barrier
	s_delay_alu instid0(VALU_DEP_1) | instskip(NEXT) | instid1(VALU_DEP_1)
	v_and_b32_e32 v0, s21, v0
	v_and_b32_e32 v1, 1, v0
	v_lshlrev_b32_e32 v2, 30, v0
	v_lshlrev_b32_e32 v3, 29, v0
	;; [unrolled: 1-line block ×4, first 2 shown]
	v_add_co_u32 v1, s17, v1, -1
	s_delay_alu instid0(VALU_DEP_1)
	v_cndmask_b32_e64 v5, 0, 1, s17
	v_not_b32_e32 v52, v2
	v_cmp_gt_i32_e64 s17, 0, v2
	v_not_b32_e32 v2, v3
	v_lshlrev_b32_e32 v7, 26, v0
	v_cmp_ne_u32_e32 vcc_lo, 0, v5
	v_ashrrev_i32_e32 v52, 31, v52
	v_lshlrev_b32_e32 v51, 25, v0
	v_ashrrev_i32_e32 v2, 31, v2
	v_lshlrev_b32_e32 v5, 24, v0
	v_xor_b32_e32 v1, vcc_lo, v1
	v_cmp_gt_i32_e32 vcc_lo, 0, v3
	v_not_b32_e32 v3, v4
	v_xor_b32_e32 v52, s17, v52
	v_cmp_gt_i32_e64 s17, 0, v4
	v_and_b32_e32 v1, exec_lo, v1
	v_not_b32_e32 v4, v6
	v_ashrrev_i32_e32 v3, 31, v3
	v_xor_b32_e32 v2, vcc_lo, v2
	v_cmp_gt_i32_e32 vcc_lo, 0, v6
	v_and_b32_e32 v1, v1, v52
	v_not_b32_e32 v6, v7
	v_ashrrev_i32_e32 v4, 31, v4
	v_xor_b32_e32 v3, s17, v3
	v_cmp_gt_i32_e64 s17, 0, v7
	v_and_b32_e32 v1, v1, v2
	v_not_b32_e32 v2, v51
	v_ashrrev_i32_e32 v6, 31, v6
	v_xor_b32_e32 v4, vcc_lo, v4
	v_cmp_gt_i32_e32 vcc_lo, 0, v51
	v_and_b32_e32 v1, v1, v3
	v_not_b32_e32 v3, v5
	v_ashrrev_i32_e32 v2, 31, v2
	v_xor_b32_e32 v6, s17, v6
	v_lshlrev_b32_e32 v0, 2, v0
	v_and_b32_e32 v1, v1, v4
	v_cmp_gt_i32_e64 s17, 0, v5
	v_ashrrev_i32_e32 v3, 31, v3
	v_xor_b32_e32 v2, vcc_lo, v2
	v_add_lshl_u32 v4, v0, v36, 2
	v_and_b32_e32 v1, v1, v6
	s_delay_alu instid0(VALU_DEP_4) | instskip(SKIP_3) | instid1(VALU_DEP_2)
	v_xor_b32_e32 v0, s17, v3
	ds_load_b32 v51, v4 offset:16
	v_and_b32_e32 v1, v1, v2
	v_add_nc_u32_e32 v53, 16, v4
	; wave barrier
	v_and_b32_e32 v0, v1, v0
	s_delay_alu instid0(VALU_DEP_1) | instskip(SKIP_1) | instid1(VALU_DEP_2)
	v_mbcnt_lo_u32_b32 v52, v0, 0
	v_cmp_ne_u32_e64 s17, 0, v0
	v_cmp_eq_u32_e32 vcc_lo, 0, v52
	s_delay_alu instid0(VALU_DEP_2) | instskip(NEXT) | instid1(SALU_CYCLE_1)
	s_and_b32 s22, s17, vcc_lo
	s_and_saveexec_b32 s17, s22
	s_cbranch_execz .LBB13_9
; %bb.8:                                ;   in Loop: Header=BB13_3 Depth=1
	s_waitcnt lgkmcnt(0)
	v_bcnt_u32_b32 v0, v0, v51
	ds_store_b32 v53, v0
.LBB13_9:                               ;   in Loop: Header=BB13_3 Depth=1
	s_or_b32 exec_lo, exec_lo, s17
	v_lshrrev_b32_e32 v0, s18, v43
	; wave barrier
	s_delay_alu instid0(VALU_DEP_1) | instskip(NEXT) | instid1(VALU_DEP_1)
	v_and_b32_e32 v0, s21, v0
	v_and_b32_e32 v1, 1, v0
	v_lshlrev_b32_e32 v2, 30, v0
	v_lshlrev_b32_e32 v3, 29, v0
	;; [unrolled: 1-line block ×4, first 2 shown]
	v_add_co_u32 v1, s17, v1, -1
	s_delay_alu instid0(VALU_DEP_1)
	v_cndmask_b32_e64 v5, 0, 1, s17
	v_not_b32_e32 v55, v2
	v_cmp_gt_i32_e64 s17, 0, v2
	v_not_b32_e32 v2, v3
	v_lshlrev_b32_e32 v7, 26, v0
	v_cmp_ne_u32_e32 vcc_lo, 0, v5
	v_ashrrev_i32_e32 v55, 31, v55
	v_lshlrev_b32_e32 v54, 25, v0
	v_ashrrev_i32_e32 v2, 31, v2
	v_lshlrev_b32_e32 v5, 24, v0
	v_xor_b32_e32 v1, vcc_lo, v1
	v_cmp_gt_i32_e32 vcc_lo, 0, v3
	v_not_b32_e32 v3, v4
	v_xor_b32_e32 v55, s17, v55
	v_cmp_gt_i32_e64 s17, 0, v4
	v_and_b32_e32 v1, exec_lo, v1
	v_not_b32_e32 v4, v6
	v_ashrrev_i32_e32 v3, 31, v3
	v_xor_b32_e32 v2, vcc_lo, v2
	v_cmp_gt_i32_e32 vcc_lo, 0, v6
	v_and_b32_e32 v1, v1, v55
	v_not_b32_e32 v6, v7
	v_ashrrev_i32_e32 v4, 31, v4
	v_xor_b32_e32 v3, s17, v3
	v_cmp_gt_i32_e64 s17, 0, v7
	v_and_b32_e32 v1, v1, v2
	v_not_b32_e32 v2, v54
	v_ashrrev_i32_e32 v6, 31, v6
	v_xor_b32_e32 v4, vcc_lo, v4
	v_cmp_gt_i32_e32 vcc_lo, 0, v54
	v_and_b32_e32 v1, v1, v3
	v_not_b32_e32 v3, v5
	v_ashrrev_i32_e32 v2, 31, v2
	v_xor_b32_e32 v6, s17, v6
	v_lshlrev_b32_e32 v0, 2, v0
	v_and_b32_e32 v1, v1, v4
	v_cmp_gt_i32_e64 s17, 0, v5
	v_ashrrev_i32_e32 v3, 31, v3
	v_xor_b32_e32 v2, vcc_lo, v2
	v_add_lshl_u32 v4, v0, v36, 2
	v_and_b32_e32 v1, v1, v6
	s_delay_alu instid0(VALU_DEP_4) | instskip(SKIP_3) | instid1(VALU_DEP_2)
	v_xor_b32_e32 v0, s17, v3
	ds_load_b32 v54, v4 offset:16
	v_and_b32_e32 v1, v1, v2
	v_add_nc_u32_e32 v56, 16, v4
	; wave barrier
	v_and_b32_e32 v0, v1, v0
	s_delay_alu instid0(VALU_DEP_1) | instskip(SKIP_1) | instid1(VALU_DEP_2)
	v_mbcnt_lo_u32_b32 v55, v0, 0
	v_cmp_ne_u32_e64 s17, 0, v0
	v_cmp_eq_u32_e32 vcc_lo, 0, v55
	s_delay_alu instid0(VALU_DEP_2) | instskip(NEXT) | instid1(SALU_CYCLE_1)
	s_and_b32 s21, s17, vcc_lo
	s_and_saveexec_b32 s17, s21
	s_cbranch_execz .LBB13_11
; %bb.10:                               ;   in Loop: Header=BB13_3 Depth=1
	s_waitcnt lgkmcnt(0)
	v_bcnt_u32_b32 v0, v0, v54
	ds_store_b32 v56, v0
.LBB13_11:                              ;   in Loop: Header=BB13_3 Depth=1
	s_or_b32 exec_lo, exec_lo, s17
	; wave barrier
	s_waitcnt lgkmcnt(0)
	s_barrier
	buffer_gl0_inv
	ds_load_2addr_b64 v[4:7], v16 offset0:2 offset1:3
	ds_load_2addr_b64 v[0:3], v35 offset0:2 offset1:3
	s_waitcnt lgkmcnt(1)
	v_add_nc_u32_e32 v57, v5, v4
	s_delay_alu instid0(VALU_DEP_1) | instskip(SKIP_1) | instid1(VALU_DEP_1)
	v_add3_u32 v57, v57, v6, v7
	s_waitcnt lgkmcnt(0)
	v_add3_u32 v57, v57, v0, v1
	s_delay_alu instid0(VALU_DEP_1) | instskip(NEXT) | instid1(VALU_DEP_1)
	v_add3_u32 v3, v57, v2, v3
	v_mov_b32_dpp v57, v3 row_shr:1 row_mask:0xf bank_mask:0xf
	s_delay_alu instid0(VALU_DEP_1) | instskip(NEXT) | instid1(VALU_DEP_1)
	v_cndmask_b32_e64 v57, v57, 0, s11
	v_add_nc_u32_e32 v3, v57, v3
	s_delay_alu instid0(VALU_DEP_1) | instskip(NEXT) | instid1(VALU_DEP_1)
	v_mov_b32_dpp v57, v3 row_shr:2 row_mask:0xf bank_mask:0xf
	v_cndmask_b32_e64 v57, 0, v57, s12
	s_delay_alu instid0(VALU_DEP_1) | instskip(NEXT) | instid1(VALU_DEP_1)
	v_add_nc_u32_e32 v3, v3, v57
	v_mov_b32_dpp v57, v3 row_shr:4 row_mask:0xf bank_mask:0xf
	s_delay_alu instid0(VALU_DEP_1) | instskip(NEXT) | instid1(VALU_DEP_1)
	v_cndmask_b32_e64 v57, 0, v57, s13
	v_add_nc_u32_e32 v3, v3, v57
	s_delay_alu instid0(VALU_DEP_1) | instskip(NEXT) | instid1(VALU_DEP_1)
	v_mov_b32_dpp v57, v3 row_shr:8 row_mask:0xf bank_mask:0xf
	v_cndmask_b32_e64 v57, 0, v57, s14
	s_delay_alu instid0(VALU_DEP_1) | instskip(SKIP_3) | instid1(VALU_DEP_1)
	v_add_nc_u32_e32 v3, v3, v57
	ds_swizzle_b32 v57, v3 offset:swizzle(BROADCAST,32,15)
	s_waitcnt lgkmcnt(0)
	v_cndmask_b32_e64 v57, v57, 0, s15
	v_add_nc_u32_e32 v3, v3, v57
	s_and_saveexec_b32 s17, s16
	s_cbranch_execz .LBB13_13
; %bb.12:                               ;   in Loop: Header=BB13_3 Depth=1
	ds_store_b32 v37, v3
.LBB13_13:                              ;   in Loop: Header=BB13_3 Depth=1
	s_or_b32 exec_lo, exec_lo, s17
	s_waitcnt lgkmcnt(0)
	s_barrier
	buffer_gl0_inv
	s_and_saveexec_b32 s17, s7
	s_cbranch_execz .LBB13_15
; %bb.14:                               ;   in Loop: Header=BB13_3 Depth=1
	ds_load_b32 v57, v41
	s_waitcnt lgkmcnt(0)
	v_mov_b32_dpp v58, v57 row_shr:1 row_mask:0xf bank_mask:0xf
	s_delay_alu instid0(VALU_DEP_1) | instskip(NEXT) | instid1(VALU_DEP_1)
	v_cndmask_b32_e64 v58, v58, 0, s2
	v_add_nc_u32_e32 v57, v58, v57
	s_delay_alu instid0(VALU_DEP_1) | instskip(NEXT) | instid1(VALU_DEP_1)
	v_mov_b32_dpp v58, v57 row_shr:2 row_mask:0xf bank_mask:0xf
	v_cndmask_b32_e64 v58, 0, v58, s10
	s_delay_alu instid0(VALU_DEP_1)
	v_add_nc_u32_e32 v57, v57, v58
	ds_store_b32 v41, v57
.LBB13_15:                              ;   in Loop: Header=BB13_3 Depth=1
	s_or_b32 exec_lo, exec_lo, s17
	v_mov_b32_e32 v57, 0
	s_waitcnt lgkmcnt(0)
	s_barrier
	buffer_gl0_inv
	s_and_saveexec_b32 s17, s8
	s_cbranch_execz .LBB13_17
; %bb.16:                               ;   in Loop: Header=BB13_3 Depth=1
	ds_load_b32 v57, v39
.LBB13_17:                              ;   in Loop: Header=BB13_3 Depth=1
	s_or_b32 exec_lo, exec_lo, s17
	s_waitcnt lgkmcnt(0)
	v_add_nc_u32_e32 v3, v57, v3
	s_add_i32 s18, s18, 8
	s_delay_alu instid0(SALU_CYCLE_1) | instskip(SKIP_3) | instid1(VALU_DEP_1)
	s_cmp_ge_u32 s18, s19
	ds_bpermute_b32 v3, v38, v3
	s_waitcnt lgkmcnt(0)
	v_cndmask_b32_e64 v3, v3, v57, s6
	v_cndmask_b32_e64 v3, v3, 0, s9
	s_delay_alu instid0(VALU_DEP_1) | instskip(NEXT) | instid1(VALU_DEP_1)
	v_add_nc_u32_e32 v4, v3, v4
	v_add_nc_u32_e32 v5, v4, v5
	s_delay_alu instid0(VALU_DEP_1) | instskip(NEXT) | instid1(VALU_DEP_1)
	v_add_nc_u32_e32 v6, v5, v6
	v_add_nc_u32_e32 v57, v6, v7
	v_lshlrev_b32_e32 v7, 2, v52
	s_delay_alu instid0(VALU_DEP_2) | instskip(NEXT) | instid1(VALU_DEP_1)
	v_add_nc_u32_e32 v58, v57, v0
	v_add_nc_u32_e32 v0, v58, v1
	s_delay_alu instid0(VALU_DEP_1)
	v_add_nc_u32_e32 v1, v0, v2
	ds_store_2addr_b64 v16, v[3:4], v[5:6] offset0:2 offset1:3
	ds_store_2addr_b64 v35, v[57:58], v[0:1] offset0:2 offset1:3
	s_waitcnt lgkmcnt(0)
	s_barrier
	buffer_gl0_inv
	ds_load_b32 v0, v50
	ds_load_b32 v1, v53
	;; [unrolled: 1-line block ×4, first 2 shown]
	v_lshlrev_b32_e32 v4, 2, v46
	v_lshlrev_b32_e32 v5, 2, v49
	;; [unrolled: 1-line block ×6, first 2 shown]
	s_waitcnt lgkmcnt(0)
	v_lshlrev_b32_e32 v0, 2, v0
	v_lshlrev_b32_e32 v1, 2, v1
	;; [unrolled: 1-line block ×3, first 2 shown]
	v_lshl_add_u32 v4, v3, 2, v4
	s_delay_alu instid0(VALU_DEP_4) | instskip(NEXT) | instid1(VALU_DEP_4)
	v_add3_u32 v5, v5, v6, v0
	v_add3_u32 v6, v7, v46, v1
	s_delay_alu instid0(VALU_DEP_4)
	v_add3_u32 v7, v47, v48, v2
	s_cbranch_scc0 .LBB13_2
; %bb.18:
                                        ; implicit-def: $vgpr3
                                        ; implicit-def: $vgpr1
                                        ; implicit-def: $sgpr20
.LBB13_19:
	s_mov_b32 s11, 0
	s_barrier
	buffer_gl0_inv
	ds_store_b32 v4, v42
	ds_store_b32 v5, v45
	;; [unrolled: 1-line block ×4, first 2 shown]
	s_waitcnt lgkmcnt(0)
	s_barrier
.LBB13_20:
	s_and_b32 vcc_lo, exec_lo, s11
	s_cbranch_vccz .LBB13_40
; %bb.21:
	s_barrier
	buffer_gl0_inv
	s_load_b32 s0, s[0:1], 0x1c
	ds_bpermute_b32 v0, v28, v33
	ds_bpermute_b32 v1, v28, v34
	;; [unrolled: 1-line block ×4, first 2 shown]
	ds_bpermute_b32 v4, v28, v33 offset:64
	ds_bpermute_b32 v5, v28, v34 offset:64
	;; [unrolled: 1-line block ×3, first 2 shown]
	ds_bpermute_b32 v6, v28, v32
	ds_bpermute_b32 v12, v29, v34 offset:96
	ds_bpermute_b32 v7, v30, v32
	ds_bpermute_b32 v13, v28, v32 offset:64
	ds_bpermute_b32 v14, v29, v32 offset:96
	ds_bpermute_b32 v32, v28, v31
	ds_bpermute_b32 v30, v30, v31
	ds_bpermute_b32 v28, v28, v31 offset:64
	ds_bpermute_b32 v29, v29, v31 offset:96
	v_cmp_gt_i32_e32 vcc_lo, 0, v20
	s_mov_b32 s14, 0
	v_cmp_gt_u32_e64 s7, 4, v10
	s_waitcnt lgkmcnt(0)
	s_lshr_b32 s1, s0, 16
	s_and_b32 s0, s0, 0xffff
	v_cndmask_b32_e64 v0, v0, v1, s5
	s_mov_b32 s12, s14
	v_cndmask_b32_e64 v1, v2, v3, s5
	v_mad_u32_u24 v3, v27, s1, v25
	v_cndmask_b32_e64 v2, v4, v5, s5
	s_mov_b32 s15, s14
	v_cndmask_b32_e64 v0, v0, v6, s4
	v_cndmask_b32_e64 v6, v11, v12, s5
	v_mad_u64_u32 v[4:5], null, v3, s0, v[10:11]
	v_cndmask_b32_e64 v1, v1, v7, s4
	v_cndmask_b32_e64 v2, v2, v13, s4
	s_delay_alu instid0(VALU_DEP_4)
	v_cndmask_b32_e64 v3, v6, v14, s4
	v_dual_cndmask_b32 v5, v20, v17 :: v_dual_and_b32 v20, 0x7c, v23
	s_mov_b32 s13, s14
	v_lshrrev_b32_e32 v25, 5, v4
	v_min_u32_e32 v4, 0x60, v26
	v_cndmask_b32_e64 v0, v0, v32, s3
	v_cndmask_b32_e64 v1, v1, v30, s3
	;; [unrolled: 1-line block ×4, first 2 shown]
	v_or_b32_e32 v4, 31, v4
	v_cmp_eq_u32_e64 s0, 0, v21
	v_cmp_lt_u32_e64 s1, 1, v21
	v_cmp_lt_u32_e64 s3, 3, v21
	;; [unrolled: 1-line block ×3, first 2 shown]
	v_cmp_eq_u32_e64 s6, v4, v10
	v_cmp_lt_u32_e64 s8, 31, v10
	v_lshlrev_b32_e32 v21, 2, v5
	v_cmp_eq_u32_e64 s9, 0, v17
	v_cmp_eq_u32_e64 s10, 0, v10
	v_dual_mov_b32 v10, s14 :: v_dual_add_nc_u32 v17, -4, v20
	v_mov_b32_e32 v12, s12
	v_or_b32_e32 v14, 16, v16
	v_cmp_eq_u32_e64 s5, 0, v22
	v_cmp_lt_u32_e64 s11, 1, v18
	v_dual_mov_b32 v11, s15 :: v_dual_lshlrev_b32 v18, 2, v24
	v_dual_mov_b32 v13, s13 :: v_dual_add_nc_u32 v22, v16, v19
	s_branch .LBB13_23
.LBB13_22:                              ;   in Loop: Header=BB13_23 Depth=1
	v_lshlrev_b32_e32 v0, 2, v7
	v_lshlrev_b32_e32 v1, 2, v6
	;; [unrolled: 1-line block ×4, first 2 shown]
	s_barrier
	buffer_gl0_inv
	ds_store_b32 v0, v19
	ds_store_b32 v1, v26
	;; [unrolled: 1-line block ×4, first 2 shown]
	s_waitcnt lgkmcnt(0)
	s_barrier
	buffer_gl0_inv
	ds_load_2addr_b32 v[0:1], v18 offset1:32
	ds_load_2addr_b32 v[2:3], v18 offset0:64 offset1:96
	s_add_i32 s14, s14, 8
	s_waitcnt lgkmcnt(0)
	s_barrier
	buffer_gl0_inv
	s_cbranch_execz .LBB13_39
.LBB13_23:                              ; =>This Inner Loop Header: Depth=1
	v_mov_b32_e32 v19, v0
	ds_store_2addr_b64 v16, v[10:11], v[12:13] offset0:2 offset1:3
	ds_store_2addr_b64 v14, v[10:11], v[12:13] offset0:2 offset1:3
	s_waitcnt lgkmcnt(0)
	s_barrier
	buffer_gl0_inv
	v_lshrrev_b32_e32 v4, s14, v19
	; wave barrier
	s_delay_alu instid0(VALU_DEP_1)
	v_lshlrev_b32_e32 v6, 30, v4
	v_bfe_u32 v0, v19, s14, 1
	v_lshlrev_b32_e32 v7, 29, v4
	v_lshlrev_b32_e32 v23, 28, v4
	;; [unrolled: 1-line block ×4, first 2 shown]
	v_add_co_u32 v0, s12, v0, -1
	s_delay_alu instid0(VALU_DEP_1) | instskip(SKIP_3) | instid1(VALU_DEP_4)
	v_cndmask_b32_e64 v5, 0, 1, s12
	v_cmp_gt_i32_e64 s12, 0, v6
	v_lshlrev_b32_e32 v27, 25, v4
	v_lshlrev_b32_e32 v4, 24, v4
	v_cmp_ne_u32_e32 vcc_lo, 0, v5
	v_not_b32_e32 v5, v6
	v_not_b32_e32 v6, v7
	v_xor_b32_e32 v0, vcc_lo, v0
	s_delay_alu instid0(VALU_DEP_3)
	v_ashrrev_i32_e32 v5, 31, v5
	v_cmp_gt_i32_e32 vcc_lo, 0, v7
	v_not_b32_e32 v7, v23
	v_ashrrev_i32_e32 v6, 31, v6
	v_and_b32_e32 v0, exec_lo, v0
	v_xor_b32_e32 v5, s12, v5
	v_cmp_gt_i32_e64 s12, 0, v23
	v_not_b32_e32 v23, v24
	v_ashrrev_i32_e32 v7, 31, v7
	v_xor_b32_e32 v6, vcc_lo, v6
	v_and_b32_e32 v0, v0, v5
	v_cmp_gt_i32_e32 vcc_lo, 0, v24
	v_not_b32_e32 v5, v26
	v_ashrrev_i32_e32 v23, 31, v23
	v_xor_b32_e32 v7, s12, v7
	v_and_b32_e32 v0, v0, v6
	v_cmp_gt_i32_e64 s12, 0, v26
	v_not_b32_e32 v6, v27
	v_ashrrev_i32_e32 v5, 31, v5
	v_xor_b32_e32 v23, vcc_lo, v23
	v_and_b32_e32 v0, v0, v7
	v_cmp_gt_i32_e32 vcc_lo, 0, v27
	v_not_b32_e32 v7, v4
	v_ashrrev_i32_e32 v6, 31, v6
	v_xor_b32_e32 v5, s12, v5
	v_dual_mov_b32 v23, v3 :: v_dual_and_b32 v0, v0, v23
	v_cmp_gt_i32_e64 s12, 0, v4
	v_ashrrev_i32_e32 v4, 31, v7
	v_xor_b32_e32 v6, vcc_lo, v6
	s_delay_alu instid0(VALU_DEP_4)
	v_and_b32_e32 v0, v0, v5
	v_mov_b32_e32 v24, v2
	v_bfe_u32 v2, v19, s14, 8
	v_xor_b32_e32 v4, s12, v4
	v_mov_b32_e32 v26, v1
	v_and_b32_e32 v0, v0, v6
	s_delay_alu instid0(VALU_DEP_4) | instskip(NEXT) | instid1(VALU_DEP_2)
	v_lshl_add_u32 v1, v2, 2, v25
	v_and_b32_e32 v0, v0, v4
	s_delay_alu instid0(VALU_DEP_2) | instskip(NEXT) | instid1(VALU_DEP_2)
	v_lshl_add_u32 v28, v1, 2, 16
	v_mbcnt_lo_u32_b32 v27, v0, 0
	v_cmp_ne_u32_e64 s12, 0, v0
	s_delay_alu instid0(VALU_DEP_2) | instskip(NEXT) | instid1(VALU_DEP_2)
	v_cmp_eq_u32_e32 vcc_lo, 0, v27
	s_and_b32 s13, s12, vcc_lo
	s_delay_alu instid0(SALU_CYCLE_1)
	s_and_saveexec_b32 s12, s13
	s_cbranch_execz .LBB13_25
; %bb.24:                               ;   in Loop: Header=BB13_23 Depth=1
	v_bcnt_u32_b32 v0, v0, 0
	ds_store_b32 v28, v0
.LBB13_25:                              ;   in Loop: Header=BB13_23 Depth=1
	s_or_b32 exec_lo, exec_lo, s12
	v_bfe_u32 v0, v26, s14, 1
	v_lshrrev_b32_e32 v1, s14, v26
	; wave barrier
	s_delay_alu instid0(VALU_DEP_2) | instskip(NEXT) | instid1(VALU_DEP_1)
	v_add_co_u32 v0, s12, v0, -1
	v_cndmask_b32_e64 v2, 0, 1, s12
	s_delay_alu instid0(VALU_DEP_3)
	v_lshlrev_b32_e32 v3, 30, v1
	v_lshlrev_b32_e32 v4, 29, v1
	;; [unrolled: 1-line block ×4, first 2 shown]
	v_cmp_ne_u32_e32 vcc_lo, 0, v2
	v_not_b32_e32 v2, v3
	v_cmp_gt_i32_e64 s12, 0, v3
	v_not_b32_e32 v3, v4
	v_lshlrev_b32_e32 v7, 26, v1
	v_xor_b32_e32 v0, vcc_lo, v0
	v_ashrrev_i32_e32 v2, 31, v2
	v_cmp_gt_i32_e32 vcc_lo, 0, v4
	v_not_b32_e32 v4, v5
	v_ashrrev_i32_e32 v3, 31, v3
	v_and_b32_e32 v0, exec_lo, v0
	v_xor_b32_e32 v2, s12, v2
	v_cmp_gt_i32_e64 s12, 0, v5
	v_not_b32_e32 v5, v6
	v_ashrrev_i32_e32 v4, 31, v4
	v_xor_b32_e32 v3, vcc_lo, v3
	v_and_b32_e32 v0, v0, v2
	v_cmp_gt_i32_e32 vcc_lo, 0, v6
	v_not_b32_e32 v2, v7
	v_ashrrev_i32_e32 v5, 31, v5
	v_xor_b32_e32 v4, s12, v4
	v_and_b32_e32 v0, v0, v3
	v_lshlrev_b32_e32 v3, 25, v1
	v_cmp_gt_i32_e64 s12, 0, v7
	v_ashrrev_i32_e32 v2, 31, v2
	v_xor_b32_e32 v5, vcc_lo, v5
	v_and_b32_e32 v0, v0, v4
	v_not_b32_e32 v6, v3
	v_lshlrev_b32_e32 v1, 24, v1
	v_bfe_u32 v4, v26, s14, 8
	v_xor_b32_e32 v2, s12, v2
	v_and_b32_e32 v0, v0, v5
	v_cmp_gt_i32_e32 vcc_lo, 0, v3
	v_ashrrev_i32_e32 v3, 31, v6
	v_not_b32_e32 v5, v1
	v_lshlrev_b32_e32 v4, 2, v4
	v_and_b32_e32 v0, v0, v2
	s_delay_alu instid0(VALU_DEP_4) | instskip(SKIP_3) | instid1(VALU_DEP_4)
	v_xor_b32_e32 v2, vcc_lo, v3
	v_cmp_gt_i32_e32 vcc_lo, 0, v1
	v_ashrrev_i32_e32 v1, 31, v5
	v_add_lshl_u32 v3, v4, v25, 2
	v_and_b32_e32 v0, v0, v2
	s_delay_alu instid0(VALU_DEP_3) | instskip(SKIP_3) | instid1(VALU_DEP_1)
	v_xor_b32_e32 v1, vcc_lo, v1
	ds_load_b32 v29, v3 offset:16
	v_add_nc_u32_e32 v31, 16, v3
	; wave barrier
	v_and_b32_e32 v0, v0, v1
	v_mbcnt_lo_u32_b32 v30, v0, 0
	v_cmp_ne_u32_e64 s12, 0, v0
	s_delay_alu instid0(VALU_DEP_2) | instskip(NEXT) | instid1(VALU_DEP_2)
	v_cmp_eq_u32_e32 vcc_lo, 0, v30
	s_and_b32 s13, s12, vcc_lo
	s_delay_alu instid0(SALU_CYCLE_1)
	s_and_saveexec_b32 s12, s13
	s_cbranch_execz .LBB13_27
; %bb.26:                               ;   in Loop: Header=BB13_23 Depth=1
	s_waitcnt lgkmcnt(0)
	v_bcnt_u32_b32 v0, v0, v29
	ds_store_b32 v31, v0
.LBB13_27:                              ;   in Loop: Header=BB13_23 Depth=1
	s_or_b32 exec_lo, exec_lo, s12
	v_bfe_u32 v0, v24, s14, 1
	v_lshrrev_b32_e32 v1, s14, v24
	; wave barrier
	s_delay_alu instid0(VALU_DEP_2) | instskip(NEXT) | instid1(VALU_DEP_1)
	v_add_co_u32 v0, s12, v0, -1
	v_cndmask_b32_e64 v2, 0, 1, s12
	s_delay_alu instid0(VALU_DEP_3)
	v_lshlrev_b32_e32 v3, 30, v1
	v_lshlrev_b32_e32 v4, 29, v1
	;; [unrolled: 1-line block ×4, first 2 shown]
	v_cmp_ne_u32_e32 vcc_lo, 0, v2
	v_not_b32_e32 v2, v3
	v_cmp_gt_i32_e64 s12, 0, v3
	v_not_b32_e32 v3, v4
	v_lshlrev_b32_e32 v7, 26, v1
	v_xor_b32_e32 v0, vcc_lo, v0
	v_ashrrev_i32_e32 v2, 31, v2
	v_cmp_gt_i32_e32 vcc_lo, 0, v4
	v_not_b32_e32 v4, v5
	v_ashrrev_i32_e32 v3, 31, v3
	v_and_b32_e32 v0, exec_lo, v0
	v_xor_b32_e32 v2, s12, v2
	v_cmp_gt_i32_e64 s12, 0, v5
	v_not_b32_e32 v5, v6
	v_ashrrev_i32_e32 v4, 31, v4
	v_xor_b32_e32 v3, vcc_lo, v3
	v_and_b32_e32 v0, v0, v2
	v_cmp_gt_i32_e32 vcc_lo, 0, v6
	v_not_b32_e32 v2, v7
	v_ashrrev_i32_e32 v5, 31, v5
	v_xor_b32_e32 v4, s12, v4
	v_and_b32_e32 v0, v0, v3
	v_lshlrev_b32_e32 v3, 25, v1
	v_cmp_gt_i32_e64 s12, 0, v7
	v_ashrrev_i32_e32 v2, 31, v2
	v_xor_b32_e32 v5, vcc_lo, v5
	v_and_b32_e32 v0, v0, v4
	v_not_b32_e32 v6, v3
	v_lshlrev_b32_e32 v1, 24, v1
	v_bfe_u32 v4, v24, s14, 8
	v_xor_b32_e32 v2, s12, v2
	v_and_b32_e32 v0, v0, v5
	v_cmp_gt_i32_e32 vcc_lo, 0, v3
	v_ashrrev_i32_e32 v3, 31, v6
	v_not_b32_e32 v5, v1
	v_lshlrev_b32_e32 v4, 2, v4
	v_and_b32_e32 v0, v0, v2
	s_delay_alu instid0(VALU_DEP_4) | instskip(SKIP_3) | instid1(VALU_DEP_4)
	v_xor_b32_e32 v2, vcc_lo, v3
	v_cmp_gt_i32_e32 vcc_lo, 0, v1
	v_ashrrev_i32_e32 v1, 31, v5
	v_add_lshl_u32 v3, v4, v25, 2
	v_and_b32_e32 v0, v0, v2
	s_delay_alu instid0(VALU_DEP_3) | instskip(SKIP_3) | instid1(VALU_DEP_1)
	v_xor_b32_e32 v1, vcc_lo, v1
	ds_load_b32 v32, v3 offset:16
	v_add_nc_u32_e32 v34, 16, v3
	; wave barrier
	v_and_b32_e32 v0, v0, v1
	v_mbcnt_lo_u32_b32 v33, v0, 0
	v_cmp_ne_u32_e64 s12, 0, v0
	s_delay_alu instid0(VALU_DEP_2) | instskip(NEXT) | instid1(VALU_DEP_2)
	v_cmp_eq_u32_e32 vcc_lo, 0, v33
	s_and_b32 s13, s12, vcc_lo
	s_delay_alu instid0(SALU_CYCLE_1)
	s_and_saveexec_b32 s12, s13
	s_cbranch_execz .LBB13_29
; %bb.28:                               ;   in Loop: Header=BB13_23 Depth=1
	s_waitcnt lgkmcnt(0)
	v_bcnt_u32_b32 v0, v0, v32
	ds_store_b32 v34, v0
.LBB13_29:                              ;   in Loop: Header=BB13_23 Depth=1
	s_or_b32 exec_lo, exec_lo, s12
	v_bfe_u32 v0, v23, s14, 1
	v_lshrrev_b32_e32 v1, s14, v23
	; wave barrier
	s_delay_alu instid0(VALU_DEP_2) | instskip(NEXT) | instid1(VALU_DEP_1)
	v_add_co_u32 v0, s12, v0, -1
	v_cndmask_b32_e64 v2, 0, 1, s12
	s_delay_alu instid0(VALU_DEP_3)
	v_lshlrev_b32_e32 v3, 30, v1
	v_lshlrev_b32_e32 v4, 29, v1
	;; [unrolled: 1-line block ×4, first 2 shown]
	v_cmp_ne_u32_e32 vcc_lo, 0, v2
	v_not_b32_e32 v2, v3
	v_cmp_gt_i32_e64 s12, 0, v3
	v_not_b32_e32 v3, v4
	v_lshlrev_b32_e32 v7, 26, v1
	v_xor_b32_e32 v0, vcc_lo, v0
	v_ashrrev_i32_e32 v2, 31, v2
	v_cmp_gt_i32_e32 vcc_lo, 0, v4
	v_not_b32_e32 v4, v5
	v_ashrrev_i32_e32 v3, 31, v3
	v_and_b32_e32 v0, exec_lo, v0
	v_xor_b32_e32 v2, s12, v2
	v_cmp_gt_i32_e64 s12, 0, v5
	v_not_b32_e32 v5, v6
	v_ashrrev_i32_e32 v4, 31, v4
	v_xor_b32_e32 v3, vcc_lo, v3
	v_and_b32_e32 v0, v0, v2
	v_cmp_gt_i32_e32 vcc_lo, 0, v6
	v_not_b32_e32 v2, v7
	v_ashrrev_i32_e32 v5, 31, v5
	v_xor_b32_e32 v4, s12, v4
	v_and_b32_e32 v0, v0, v3
	v_lshlrev_b32_e32 v3, 25, v1
	v_cmp_gt_i32_e64 s12, 0, v7
	v_ashrrev_i32_e32 v2, 31, v2
	v_xor_b32_e32 v5, vcc_lo, v5
	v_and_b32_e32 v0, v0, v4
	v_not_b32_e32 v6, v3
	v_lshlrev_b32_e32 v1, 24, v1
	v_bfe_u32 v4, v23, s14, 8
	v_xor_b32_e32 v2, s12, v2
	v_and_b32_e32 v0, v0, v5
	v_cmp_gt_i32_e32 vcc_lo, 0, v3
	v_ashrrev_i32_e32 v3, 31, v6
	v_not_b32_e32 v5, v1
	v_lshlrev_b32_e32 v4, 2, v4
	v_and_b32_e32 v0, v0, v2
	s_delay_alu instid0(VALU_DEP_4) | instskip(SKIP_3) | instid1(VALU_DEP_4)
	v_xor_b32_e32 v2, vcc_lo, v3
	v_cmp_gt_i32_e32 vcc_lo, 0, v1
	v_ashrrev_i32_e32 v1, 31, v5
	v_add_lshl_u32 v3, v4, v25, 2
	v_and_b32_e32 v0, v0, v2
	s_delay_alu instid0(VALU_DEP_3) | instskip(SKIP_3) | instid1(VALU_DEP_1)
	v_xor_b32_e32 v1, vcc_lo, v1
	ds_load_b32 v35, v3 offset:16
	v_add_nc_u32_e32 v37, 16, v3
	; wave barrier
	v_and_b32_e32 v0, v0, v1
	v_mbcnt_lo_u32_b32 v36, v0, 0
	v_cmp_ne_u32_e64 s12, 0, v0
	s_delay_alu instid0(VALU_DEP_2) | instskip(NEXT) | instid1(VALU_DEP_2)
	v_cmp_eq_u32_e32 vcc_lo, 0, v36
	s_and_b32 s13, s12, vcc_lo
	s_delay_alu instid0(SALU_CYCLE_1)
	s_and_saveexec_b32 s12, s13
	s_cbranch_execz .LBB13_31
; %bb.30:                               ;   in Loop: Header=BB13_23 Depth=1
	s_waitcnt lgkmcnt(0)
	v_bcnt_u32_b32 v0, v0, v35
	ds_store_b32 v37, v0
.LBB13_31:                              ;   in Loop: Header=BB13_23 Depth=1
	s_or_b32 exec_lo, exec_lo, s12
	; wave barrier
	s_waitcnt lgkmcnt(0)
	s_barrier
	buffer_gl0_inv
	ds_load_2addr_b64 v[4:7], v16 offset0:2 offset1:3
	ds_load_2addr_b64 v[0:3], v14 offset0:2 offset1:3
	s_waitcnt lgkmcnt(1)
	v_add_nc_u32_e32 v38, v5, v4
	s_delay_alu instid0(VALU_DEP_1) | instskip(SKIP_1) | instid1(VALU_DEP_1)
	v_add3_u32 v38, v38, v6, v7
	s_waitcnt lgkmcnt(0)
	v_add3_u32 v38, v38, v0, v1
	s_delay_alu instid0(VALU_DEP_1) | instskip(NEXT) | instid1(VALU_DEP_1)
	v_add3_u32 v3, v38, v2, v3
	v_mov_b32_dpp v38, v3 row_shr:1 row_mask:0xf bank_mask:0xf
	s_delay_alu instid0(VALU_DEP_1) | instskip(NEXT) | instid1(VALU_DEP_1)
	v_cndmask_b32_e64 v38, v38, 0, s0
	v_add_nc_u32_e32 v3, v38, v3
	s_delay_alu instid0(VALU_DEP_1) | instskip(NEXT) | instid1(VALU_DEP_1)
	v_mov_b32_dpp v38, v3 row_shr:2 row_mask:0xf bank_mask:0xf
	v_cndmask_b32_e64 v38, 0, v38, s1
	s_delay_alu instid0(VALU_DEP_1) | instskip(NEXT) | instid1(VALU_DEP_1)
	v_add_nc_u32_e32 v3, v3, v38
	v_mov_b32_dpp v38, v3 row_shr:4 row_mask:0xf bank_mask:0xf
	s_delay_alu instid0(VALU_DEP_1) | instskip(NEXT) | instid1(VALU_DEP_1)
	v_cndmask_b32_e64 v38, 0, v38, s3
	v_add_nc_u32_e32 v3, v3, v38
	s_delay_alu instid0(VALU_DEP_1) | instskip(NEXT) | instid1(VALU_DEP_1)
	v_mov_b32_dpp v38, v3 row_shr:8 row_mask:0xf bank_mask:0xf
	v_cndmask_b32_e64 v38, 0, v38, s4
	s_delay_alu instid0(VALU_DEP_1) | instskip(SKIP_3) | instid1(VALU_DEP_1)
	v_add_nc_u32_e32 v3, v3, v38
	ds_swizzle_b32 v38, v3 offset:swizzle(BROADCAST,32,15)
	s_waitcnt lgkmcnt(0)
	v_cndmask_b32_e64 v38, v38, 0, s5
	v_add_nc_u32_e32 v3, v3, v38
	s_and_saveexec_b32 s12, s6
	s_cbranch_execz .LBB13_33
; %bb.32:                               ;   in Loop: Header=BB13_23 Depth=1
	ds_store_b32 v20, v3
.LBB13_33:                              ;   in Loop: Header=BB13_23 Depth=1
	s_or_b32 exec_lo, exec_lo, s12
	s_waitcnt lgkmcnt(0)
	s_barrier
	buffer_gl0_inv
	s_and_saveexec_b32 s12, s7
	s_cbranch_execz .LBB13_35
; %bb.34:                               ;   in Loop: Header=BB13_23 Depth=1
	ds_load_b32 v38, v22
	s_waitcnt lgkmcnt(0)
	v_mov_b32_dpp v39, v38 row_shr:1 row_mask:0xf bank_mask:0xf
	s_delay_alu instid0(VALU_DEP_1) | instskip(NEXT) | instid1(VALU_DEP_1)
	v_cndmask_b32_e64 v39, v39, 0, s2
	v_add_nc_u32_e32 v38, v39, v38
	s_delay_alu instid0(VALU_DEP_1) | instskip(NEXT) | instid1(VALU_DEP_1)
	v_mov_b32_dpp v39, v38 row_shr:2 row_mask:0xf bank_mask:0xf
	v_cndmask_b32_e64 v39, 0, v39, s11
	s_delay_alu instid0(VALU_DEP_1)
	v_add_nc_u32_e32 v38, v38, v39
	ds_store_b32 v22, v38
.LBB13_35:                              ;   in Loop: Header=BB13_23 Depth=1
	s_or_b32 exec_lo, exec_lo, s12
	v_mov_b32_e32 v38, 0
	s_waitcnt lgkmcnt(0)
	s_barrier
	buffer_gl0_inv
	s_and_saveexec_b32 s12, s8
	s_cbranch_execz .LBB13_37
; %bb.36:                               ;   in Loop: Header=BB13_23 Depth=1
	ds_load_b32 v38, v17
.LBB13_37:                              ;   in Loop: Header=BB13_23 Depth=1
	s_or_b32 exec_lo, exec_lo, s12
	s_waitcnt lgkmcnt(0)
	v_add_nc_u32_e32 v3, v38, v3
	s_cmp_gt_u32 s14, 23
	ds_bpermute_b32 v3, v21, v3
	s_waitcnt lgkmcnt(0)
	v_cndmask_b32_e64 v3, v3, v38, s9
	s_delay_alu instid0(VALU_DEP_1) | instskip(NEXT) | instid1(VALU_DEP_1)
	v_cndmask_b32_e64 v3, v3, 0, s10
	v_add_nc_u32_e32 v4, v3, v4
	s_delay_alu instid0(VALU_DEP_1) | instskip(NEXT) | instid1(VALU_DEP_1)
	v_add_nc_u32_e32 v5, v4, v5
	v_add_nc_u32_e32 v6, v5, v6
	s_delay_alu instid0(VALU_DEP_1) | instskip(NEXT) | instid1(VALU_DEP_1)
	v_add_nc_u32_e32 v38, v6, v7
	;; [unrolled: 3-line block ×3, first 2 shown]
	v_add_nc_u32_e32 v1, v0, v2
	ds_store_2addr_b64 v16, v[3:4], v[5:6] offset0:2 offset1:3
	ds_store_2addr_b64 v14, v[38:39], v[0:1] offset0:2 offset1:3
	s_waitcnt lgkmcnt(0)
	s_barrier
	buffer_gl0_inv
	ds_load_b32 v0, v28
	ds_load_b32 v1, v31
	;; [unrolled: 1-line block ×4, first 2 shown]
	s_waitcnt lgkmcnt(3)
	v_add_nc_u32_e32 v7, v0, v27
	s_waitcnt lgkmcnt(2)
	v_add3_u32 v6, v30, v29, v1
	s_waitcnt lgkmcnt(1)
	v_add3_u32 v5, v33, v32, v2
	;; [unrolled: 2-line block ×3, first 2 shown]
	s_cbranch_scc0 .LBB13_22
; %bb.38:
                                        ; implicit-def: $vgpr3
                                        ; implicit-def: $vgpr1
                                        ; implicit-def: $sgpr14
.LBB13_39:
	v_lshlrev_b32_e32 v0, 2, v7
	v_lshlrev_b32_e32 v1, 2, v6
	;; [unrolled: 1-line block ×4, first 2 shown]
	s_barrier
	buffer_gl0_inv
	ds_store_b32 v0, v19
	ds_store_b32 v1, v26
	;; [unrolled: 1-line block ×4, first 2 shown]
	s_waitcnt lgkmcnt(0)
	s_barrier
.LBB13_40:
	v_lshlrev_b32_e32 v0, 2, v15
	buffer_gl0_inv
	ds_load_2addr_b64 v[0:3], v0 offset1:1
	s_waitcnt lgkmcnt(0)
	v_xor_b32_e32 v0, 0x80000000, v0
	v_xor_b32_e32 v1, 0x80000000, v1
	;; [unrolled: 1-line block ×4, first 2 shown]
	global_store_b128 v[8:9], v[0:3], off
	s_nop 0
	s_sendmsg sendmsg(MSG_DEALLOC_VGPRS)
	s_endpgm
	.section	.rodata,"a",@progbits
	.p2align	6, 0x0
	.amdhsa_kernel _Z15sort_key_kernelILj128ELj4ELb0ELb0EiEvPT3_jj
		.amdhsa_group_segment_fixed_size 4112
		.amdhsa_private_segment_fixed_size 0
		.amdhsa_kernarg_size 272
		.amdhsa_user_sgpr_count 15
		.amdhsa_user_sgpr_dispatch_ptr 0
		.amdhsa_user_sgpr_queue_ptr 0
		.amdhsa_user_sgpr_kernarg_segment_ptr 1
		.amdhsa_user_sgpr_dispatch_id 0
		.amdhsa_user_sgpr_private_segment_size 0
		.amdhsa_wavefront_size32 1
		.amdhsa_uses_dynamic_stack 0
		.amdhsa_enable_private_segment 0
		.amdhsa_system_sgpr_workgroup_id_x 1
		.amdhsa_system_sgpr_workgroup_id_y 0
		.amdhsa_system_sgpr_workgroup_id_z 0
		.amdhsa_system_sgpr_workgroup_info 0
		.amdhsa_system_vgpr_workitem_id 2
		.amdhsa_next_free_vgpr 59
		.amdhsa_next_free_sgpr 24
		.amdhsa_reserve_vcc 1
		.amdhsa_float_round_mode_32 0
		.amdhsa_float_round_mode_16_64 0
		.amdhsa_float_denorm_mode_32 3
		.amdhsa_float_denorm_mode_16_64 3
		.amdhsa_dx10_clamp 1
		.amdhsa_ieee_mode 1
		.amdhsa_fp16_overflow 0
		.amdhsa_workgroup_processor_mode 1
		.amdhsa_memory_ordered 1
		.amdhsa_forward_progress 0
		.amdhsa_shared_vgpr_count 0
		.amdhsa_exception_fp_ieee_invalid_op 0
		.amdhsa_exception_fp_denorm_src 0
		.amdhsa_exception_fp_ieee_div_zero 0
		.amdhsa_exception_fp_ieee_overflow 0
		.amdhsa_exception_fp_ieee_underflow 0
		.amdhsa_exception_fp_ieee_inexact 0
		.amdhsa_exception_int_div_zero 0
	.end_amdhsa_kernel
	.section	.text._Z15sort_key_kernelILj128ELj4ELb0ELb0EiEvPT3_jj,"axG",@progbits,_Z15sort_key_kernelILj128ELj4ELb0ELb0EiEvPT3_jj,comdat
.Lfunc_end13:
	.size	_Z15sort_key_kernelILj128ELj4ELb0ELb0EiEvPT3_jj, .Lfunc_end13-_Z15sort_key_kernelILj128ELj4ELb0ELb0EiEvPT3_jj
                                        ; -- End function
	.section	.AMDGPU.csdata,"",@progbits
; Kernel info:
; codeLenInByte = 5504
; NumSgprs: 26
; NumVgprs: 59
; ScratchSize: 0
; MemoryBound: 0
; FloatMode: 240
; IeeeMode: 1
; LDSByteSize: 4112 bytes/workgroup (compile time only)
; SGPRBlocks: 3
; VGPRBlocks: 7
; NumSGPRsForWavesPerEU: 26
; NumVGPRsForWavesPerEU: 59
; Occupancy: 16
; WaveLimiterHint : 0
; COMPUTE_PGM_RSRC2:SCRATCH_EN: 0
; COMPUTE_PGM_RSRC2:USER_SGPR: 15
; COMPUTE_PGM_RSRC2:TRAP_HANDLER: 0
; COMPUTE_PGM_RSRC2:TGID_X_EN: 1
; COMPUTE_PGM_RSRC2:TGID_Y_EN: 0
; COMPUTE_PGM_RSRC2:TGID_Z_EN: 0
; COMPUTE_PGM_RSRC2:TIDIG_COMP_CNT: 2
	.section	.text._Z15sort_key_kernelILj64ELj2ELb0ELb1EfEvPT3_jj,"axG",@progbits,_Z15sort_key_kernelILj64ELj2ELb0ELb1EfEvPT3_jj,comdat
	.protected	_Z15sort_key_kernelILj64ELj2ELb0ELb1EfEvPT3_jj ; -- Begin function _Z15sort_key_kernelILj64ELj2ELb0ELb1EfEvPT3_jj
	.globl	_Z15sort_key_kernelILj64ELj2ELb0ELb1EfEvPT3_jj
	.p2align	8
	.type	_Z15sort_key_kernelILj64ELj2ELb0ELb1EfEvPT3_jj,@function
_Z15sort_key_kernelILj64ELj2ELb0ELb1EfEvPT3_jj: ; @_Z15sort_key_kernelILj64ELj2ELb0ELb1EfEvPT3_jj
; %bb.0:
	s_load_b128 s[16:19], s[0:1], 0x0
	v_and_b32_e32 v10, 0x3ff, v0
	s_mov_b32 s21, 0
	s_lshl_b32 s20, s14, 7
	v_mbcnt_lo_u32_b32 v17, -1, 0
	s_lshl_b64 s[2:3], s[20:21], 2
	v_lshlrev_b32_e32 v3, 3, v10
	v_bfe_u32 v18, v0, 20, 10
	v_bfe_u32 v19, v0, 10, 10
	v_lshlrev_b32_e32 v5, 1, v17
	v_and_b32_e32 v4, 1, v17
	v_lshlrev_b32_e32 v15, 1, v10
	v_and_b32_e32 v22, 15, v17
	v_and_b32_e32 v23, 16, v17
	;; [unrolled: 1-line block ×3, first 2 shown]
	v_add_nc_u32_e32 v21, -1, v17
	v_cmp_eq_u32_e64 s12, 0, v17
	v_cmp_eq_u32_e64 s11, 0, v4
	v_lshlrev_b32_e32 v16, 5, v10
	v_and_b32_e32 v25, 0x3e0, v10
	s_waitcnt lgkmcnt(0)
	s_add_u32 s6, s16, s2
	s_addc_u32 s7, s17, s3
	s_cmp_lg_u32 s18, 0
	global_load_b64 v[1:2], v3, s[6:7]
	v_add_co_u32 v8, s6, s6, v3
	s_cselect_b32 s8, -1, 0
	s_cmp_lg_u32 s19, 32
	v_cmp_gt_u32_e64 s2, 2, v10
	s_cselect_b32 s9, -1, 0
	v_cmp_lt_u32_e64 s3, 31, v10
	v_cmp_eq_u32_e64 s4, 0, v10
	v_lshrrev_b32_e32 v24, 3, v10
	v_mul_i32_i24_e32 v20, 0xffffffe4, v10
	v_or_b32_e32 v28, 64, v27
	v_add_co_ci_u32_e64 v9, null, s7, 0, s6
	v_and_or_b32 v26, 0x7c0, v15, v17
	s_or_b32 s6, s8, s9
	s_add_u32 s16, s0, 16
	s_mov_b32 s5, -1
	s_addc_u32 s17, s1, 0
	s_waitcnt vmcnt(0)
	v_cmp_gt_i32_e32 vcc_lo, 0, v1
	v_cndmask_b32_e64 v0, 0x7fffffff, 0, vcc_lo
	v_cmp_gt_i32_e32 vcc_lo, 0, v2
	s_delay_alu instid0(VALU_DEP_2) | instskip(SKIP_2) | instid1(VALU_DEP_1)
	v_xor_b32_e32 v29, v0, v1
	v_cndmask_b32_e64 v3, 0x7fffffff, 0, vcc_lo
	s_and_b32 vcc_lo, exec_lo, s6
	v_xor_b32_e32 v30, v3, v2
	s_cbranch_vccz .LBB14_16
; %bb.1:
	s_barrier
	buffer_gl0_inv
	s_clause 0x1
	s_load_b32 s0, s[16:17], 0x4
	s_load_b32 s10, s[16:17], 0xc
	v_cmp_gt_i32_e32 vcc_lo, 0, v21
	v_mov_b32_e32 v0, 0
	ds_bpermute_b32 v1, v27, v29
	ds_bpermute_b32 v4, v27, v30
	;; [unrolled: 1-line block ×3, first 2 shown]
	v_cndmask_b32_e32 v7, v21, v17, vcc_lo
	ds_bpermute_b32 v6, v28, v30
	v_min_u32_e32 v2, 32, v25
	s_mov_b32 s20, s21
	v_and_b32_e32 v32, 0x7c, v24
	v_or_b32_e32 v31, 8, v16
	v_cmp_eq_u32_e64 s5, 0, v22
	v_or_b32_e32 v36, 31, v2
	v_cmp_lt_u32_e64 s6, 1, v22
	v_cmp_lt_u32_e64 s7, 3, v22
	;; [unrolled: 1-line block ×3, first 2 shown]
	v_cmp_eq_u32_e64 s9, 0, v23
	v_lshlrev_b32_e32 v33, 2, v26
	s_waitcnt lgkmcnt(0)
	s_cmp_lt_u32 s15, s0
	v_lshlrev_b32_e32 v34, 2, v7
	s_cselect_b32 s0, 14, 20
	v_add_nc_u32_e32 v37, v16, v20
	s_add_u32 s0, s16, s0
	s_addc_u32 s1, s17, 0
	s_and_b32 s10, s10, 0xffff
	global_load_u16 v0, v0, s[0:1]
	s_mov_b32 s0, s21
	s_mov_b32 s1, s21
	s_delay_alu instid0(SALU_CYCLE_1) | instskip(SKIP_3) | instid1(VALU_DEP_1)
	v_dual_mov_b32 v14, s1 :: v_dual_mov_b32 v13, s0
	s_sub_i32 s1, s19, s18
	s_waitcnt vmcnt(0)
	v_mad_u32_u24 v0, v18, v0, v19
	v_mad_u64_u32 v[2:3], null, v0, s10, v[10:11]
	v_dual_mov_b32 v11, s20 :: v_dual_mov_b32 v12, s21
	v_add_nc_u32_e32 v35, -4, v32
	v_cmp_eq_u32_e64 s10, v36, v10
	v_cndmask_b32_e64 v0, v4, v1, s11
	v_cndmask_b32_e64 v1, v6, v5, s11
	v_lshrrev_b32_e32 v36, 5, v2
	s_branch .LBB14_3
.LBB14_2:                               ;   in Loop: Header=BB14_3 Depth=1
	s_barrier
	buffer_gl0_inv
	ds_store_b32 v2, v38
	ds_store_b32 v3, v39
	s_waitcnt lgkmcnt(0)
	s_barrier
	buffer_gl0_inv
	ds_load_2addr_b32 v[0:1], v33 offset1:32
	s_add_i32 s1, s1, -8
	s_waitcnt lgkmcnt(0)
	s_barrier
	buffer_gl0_inv
	s_cbranch_execz .LBB14_15
.LBB14_3:                               ; =>This Inner Loop Header: Depth=1
	s_delay_alu instid0(VALU_DEP_3)
	v_mov_b32_e32 v38, v0
	s_min_u32 s0, s1, 8
	ds_store_2addr_b64 v16, v[11:12], v[13:14] offset0:1 offset1:2
	ds_store_2addr_b64 v31, v[11:12], v[13:14] offset0:2 offset1:3
	s_lshl_b32 s0, -1, s0
	s_waitcnt lgkmcnt(0)
	v_cmp_ne_u32_e32 vcc_lo, 0x80000000, v38
	s_not_b32 s13, s0
	s_barrier
	buffer_gl0_inv
	v_cndmask_b32_e32 v0, 0x7fffffff, v38, vcc_lo
	; wave barrier
	s_delay_alu instid0(VALU_DEP_1) | instskip(NEXT) | instid1(VALU_DEP_1)
	v_lshrrev_b32_e32 v0, s18, v0
	v_and_b32_e32 v2, s13, v0
	s_delay_alu instid0(VALU_DEP_1)
	v_and_b32_e32 v0, 1, v2
	v_lshlrev_b32_e32 v3, 30, v2
	v_lshlrev_b32_e32 v4, 29, v2
	;; [unrolled: 1-line block ×4, first 2 shown]
	v_add_co_u32 v0, s0, v0, -1
	s_delay_alu instid0(VALU_DEP_1)
	v_cndmask_b32_e64 v6, 0, 1, s0
	v_not_b32_e32 v41, v3
	v_cmp_gt_i32_e64 s0, 0, v3
	v_not_b32_e32 v3, v4
	v_lshlrev_b32_e32 v39, 26, v2
	v_cmp_ne_u32_e32 vcc_lo, 0, v6
	v_ashrrev_i32_e32 v41, 31, v41
	v_lshlrev_b32_e32 v40, 25, v2
	v_ashrrev_i32_e32 v3, 31, v3
	v_lshlrev_b32_e32 v6, 24, v2
	v_xor_b32_e32 v0, vcc_lo, v0
	v_cmp_gt_i32_e32 vcc_lo, 0, v4
	v_not_b32_e32 v4, v5
	v_xor_b32_e32 v41, s0, v41
	v_cmp_gt_i32_e64 s0, 0, v5
	v_and_b32_e32 v0, exec_lo, v0
	v_not_b32_e32 v5, v7
	v_ashrrev_i32_e32 v4, 31, v4
	v_xor_b32_e32 v3, vcc_lo, v3
	v_cmp_gt_i32_e32 vcc_lo, 0, v7
	v_and_b32_e32 v0, v0, v41
	v_not_b32_e32 v7, v39
	v_ashrrev_i32_e32 v5, 31, v5
	v_xor_b32_e32 v4, s0, v4
	v_cmp_gt_i32_e64 s0, 0, v39
	v_dual_mov_b32 v39, v1 :: v_dual_and_b32 v0, v0, v3
	v_not_b32_e32 v3, v40
	v_ashrrev_i32_e32 v7, 31, v7
	v_xor_b32_e32 v5, vcc_lo, v5
	v_cmp_gt_i32_e32 vcc_lo, 0, v40
	v_and_b32_e32 v0, v0, v4
	v_not_b32_e32 v4, v6
	v_ashrrev_i32_e32 v3, 31, v3
	v_xor_b32_e32 v7, s0, v7
	v_cmp_gt_i32_e64 s0, 0, v6
	v_and_b32_e32 v0, v0, v5
	v_ashrrev_i32_e32 v4, 31, v4
	v_xor_b32_e32 v3, vcc_lo, v3
	v_lshl_add_u32 v1, v2, 1, v36
	s_delay_alu instid0(VALU_DEP_4) | instskip(NEXT) | instid1(VALU_DEP_4)
	v_and_b32_e32 v0, v0, v7
	v_xor_b32_e32 v4, s0, v4
	s_delay_alu instid0(VALU_DEP_3) | instskip(NEXT) | instid1(VALU_DEP_3)
	v_lshl_add_u32 v41, v1, 2, 8
	v_and_b32_e32 v0, v0, v3
	s_delay_alu instid0(VALU_DEP_1) | instskip(NEXT) | instid1(VALU_DEP_1)
	v_and_b32_e32 v0, v0, v4
	v_mbcnt_lo_u32_b32 v40, v0, 0
	v_cmp_ne_u32_e64 s0, 0, v0
	s_delay_alu instid0(VALU_DEP_2) | instskip(NEXT) | instid1(VALU_DEP_2)
	v_cmp_eq_u32_e32 vcc_lo, 0, v40
	s_and_b32 s20, s0, vcc_lo
	s_delay_alu instid0(SALU_CYCLE_1)
	s_and_saveexec_b32 s0, s20
	s_cbranch_execz .LBB14_5
; %bb.4:                                ;   in Loop: Header=BB14_3 Depth=1
	v_bcnt_u32_b32 v0, v0, 0
	ds_store_b32 v41, v0
.LBB14_5:                               ;   in Loop: Header=BB14_3 Depth=1
	s_or_b32 exec_lo, exec_lo, s0
	v_cmp_ne_u32_e32 vcc_lo, 0x80000000, v39
	; wave barrier
	v_cndmask_b32_e32 v0, 0x7fffffff, v39, vcc_lo
	s_delay_alu instid0(VALU_DEP_1) | instskip(NEXT) | instid1(VALU_DEP_1)
	v_lshrrev_b32_e32 v0, s18, v0
	v_and_b32_e32 v0, s13, v0
	s_delay_alu instid0(VALU_DEP_1)
	v_and_b32_e32 v1, 1, v0
	v_lshlrev_b32_e32 v2, 30, v0
	v_lshlrev_b32_e32 v3, 29, v0
	;; [unrolled: 1-line block ×4, first 2 shown]
	v_add_co_u32 v1, s0, v1, -1
	s_delay_alu instid0(VALU_DEP_1)
	v_cndmask_b32_e64 v5, 0, 1, s0
	v_not_b32_e32 v43, v2
	v_cmp_gt_i32_e64 s0, 0, v2
	v_not_b32_e32 v2, v3
	v_lshlrev_b32_e32 v7, 26, v0
	v_cmp_ne_u32_e32 vcc_lo, 0, v5
	v_ashrrev_i32_e32 v43, 31, v43
	v_lshlrev_b32_e32 v42, 25, v0
	v_ashrrev_i32_e32 v2, 31, v2
	v_lshlrev_b32_e32 v5, 24, v0
	v_xor_b32_e32 v1, vcc_lo, v1
	v_cmp_gt_i32_e32 vcc_lo, 0, v3
	v_not_b32_e32 v3, v4
	v_xor_b32_e32 v43, s0, v43
	v_cmp_gt_i32_e64 s0, 0, v4
	v_and_b32_e32 v1, exec_lo, v1
	v_not_b32_e32 v4, v6
	v_ashrrev_i32_e32 v3, 31, v3
	v_xor_b32_e32 v2, vcc_lo, v2
	v_cmp_gt_i32_e32 vcc_lo, 0, v6
	v_and_b32_e32 v1, v1, v43
	v_not_b32_e32 v6, v7
	v_ashrrev_i32_e32 v4, 31, v4
	v_xor_b32_e32 v3, s0, v3
	v_cmp_gt_i32_e64 s0, 0, v7
	v_and_b32_e32 v1, v1, v2
	v_not_b32_e32 v2, v42
	v_ashrrev_i32_e32 v6, 31, v6
	v_xor_b32_e32 v4, vcc_lo, v4
	v_cmp_gt_i32_e32 vcc_lo, 0, v42
	v_and_b32_e32 v1, v1, v3
	v_not_b32_e32 v3, v5
	v_ashrrev_i32_e32 v2, 31, v2
	v_xor_b32_e32 v6, s0, v6
	v_lshlrev_b32_e32 v0, 1, v0
	v_and_b32_e32 v1, v1, v4
	v_cmp_gt_i32_e64 s0, 0, v5
	v_ashrrev_i32_e32 v3, 31, v3
	v_xor_b32_e32 v2, vcc_lo, v2
	v_add_lshl_u32 v4, v0, v36, 2
	v_and_b32_e32 v1, v1, v6
	s_delay_alu instid0(VALU_DEP_4) | instskip(SKIP_3) | instid1(VALU_DEP_2)
	v_xor_b32_e32 v0, s0, v3
	ds_load_b32 v42, v4 offset:8
	v_and_b32_e32 v1, v1, v2
	v_add_nc_u32_e32 v44, 8, v4
	; wave barrier
	v_and_b32_e32 v0, v1, v0
	s_delay_alu instid0(VALU_DEP_1) | instskip(SKIP_1) | instid1(VALU_DEP_2)
	v_mbcnt_lo_u32_b32 v43, v0, 0
	v_cmp_ne_u32_e64 s0, 0, v0
	v_cmp_eq_u32_e32 vcc_lo, 0, v43
	s_delay_alu instid0(VALU_DEP_2) | instskip(NEXT) | instid1(SALU_CYCLE_1)
	s_and_b32 s13, s0, vcc_lo
	s_and_saveexec_b32 s0, s13
	s_cbranch_execz .LBB14_7
; %bb.6:                                ;   in Loop: Header=BB14_3 Depth=1
	s_waitcnt lgkmcnt(0)
	v_bcnt_u32_b32 v0, v0, v42
	ds_store_b32 v44, v0
.LBB14_7:                               ;   in Loop: Header=BB14_3 Depth=1
	s_or_b32 exec_lo, exec_lo, s0
	; wave barrier
	s_waitcnt lgkmcnt(0)
	s_barrier
	buffer_gl0_inv
	ds_load_2addr_b64 v[4:7], v16 offset0:1 offset1:2
	ds_load_2addr_b64 v[0:3], v31 offset0:2 offset1:3
	s_waitcnt lgkmcnt(1)
	v_add_nc_u32_e32 v45, v5, v4
	s_delay_alu instid0(VALU_DEP_1) | instskip(SKIP_1) | instid1(VALU_DEP_1)
	v_add3_u32 v45, v45, v6, v7
	s_waitcnt lgkmcnt(0)
	v_add3_u32 v45, v45, v0, v1
	s_delay_alu instid0(VALU_DEP_1) | instskip(NEXT) | instid1(VALU_DEP_1)
	v_add3_u32 v3, v45, v2, v3
	v_mov_b32_dpp v45, v3 row_shr:1 row_mask:0xf bank_mask:0xf
	s_delay_alu instid0(VALU_DEP_1) | instskip(NEXT) | instid1(VALU_DEP_1)
	v_cndmask_b32_e64 v45, v45, 0, s5
	v_add_nc_u32_e32 v3, v45, v3
	s_delay_alu instid0(VALU_DEP_1) | instskip(NEXT) | instid1(VALU_DEP_1)
	v_mov_b32_dpp v45, v3 row_shr:2 row_mask:0xf bank_mask:0xf
	v_cndmask_b32_e64 v45, 0, v45, s6
	s_delay_alu instid0(VALU_DEP_1) | instskip(NEXT) | instid1(VALU_DEP_1)
	v_add_nc_u32_e32 v3, v3, v45
	v_mov_b32_dpp v45, v3 row_shr:4 row_mask:0xf bank_mask:0xf
	s_delay_alu instid0(VALU_DEP_1) | instskip(NEXT) | instid1(VALU_DEP_1)
	v_cndmask_b32_e64 v45, 0, v45, s7
	v_add_nc_u32_e32 v3, v3, v45
	s_delay_alu instid0(VALU_DEP_1) | instskip(NEXT) | instid1(VALU_DEP_1)
	v_mov_b32_dpp v45, v3 row_shr:8 row_mask:0xf bank_mask:0xf
	v_cndmask_b32_e64 v45, 0, v45, s8
	s_delay_alu instid0(VALU_DEP_1) | instskip(SKIP_3) | instid1(VALU_DEP_1)
	v_add_nc_u32_e32 v3, v3, v45
	ds_swizzle_b32 v45, v3 offset:swizzle(BROADCAST,32,15)
	s_waitcnt lgkmcnt(0)
	v_cndmask_b32_e64 v45, v45, 0, s9
	v_add_nc_u32_e32 v3, v3, v45
	s_and_saveexec_b32 s0, s10
	s_cbranch_execz .LBB14_9
; %bb.8:                                ;   in Loop: Header=BB14_3 Depth=1
	ds_store_b32 v32, v3
.LBB14_9:                               ;   in Loop: Header=BB14_3 Depth=1
	s_or_b32 exec_lo, exec_lo, s0
	s_waitcnt lgkmcnt(0)
	s_barrier
	buffer_gl0_inv
	s_and_saveexec_b32 s0, s2
	s_cbranch_execz .LBB14_11
; %bb.10:                               ;   in Loop: Header=BB14_3 Depth=1
	ds_load_b32 v45, v37
	s_waitcnt lgkmcnt(0)
	v_mov_b32_dpp v46, v45 row_shr:1 row_mask:0xf bank_mask:0xf
	s_delay_alu instid0(VALU_DEP_1) | instskip(NEXT) | instid1(VALU_DEP_1)
	v_cndmask_b32_e64 v46, v46, 0, s11
	v_add_nc_u32_e32 v45, v46, v45
	ds_store_b32 v37, v45
.LBB14_11:                              ;   in Loop: Header=BB14_3 Depth=1
	s_or_b32 exec_lo, exec_lo, s0
	v_mov_b32_e32 v45, 0
	s_waitcnt lgkmcnt(0)
	s_barrier
	buffer_gl0_inv
	s_and_saveexec_b32 s0, s3
	s_cbranch_execz .LBB14_13
; %bb.12:                               ;   in Loop: Header=BB14_3 Depth=1
	ds_load_b32 v45, v35
.LBB14_13:                              ;   in Loop: Header=BB14_3 Depth=1
	s_or_b32 exec_lo, exec_lo, s0
	s_waitcnt lgkmcnt(0)
	v_add_nc_u32_e32 v3, v45, v3
	s_add_i32 s18, s18, 8
	s_delay_alu instid0(SALU_CYCLE_1) | instskip(SKIP_3) | instid1(VALU_DEP_1)
	s_cmp_ge_u32 s18, s19
	ds_bpermute_b32 v3, v34, v3
	s_waitcnt lgkmcnt(0)
	v_cndmask_b32_e64 v3, v3, v45, s12
	v_cndmask_b32_e64 v3, v3, 0, s4
	s_delay_alu instid0(VALU_DEP_1) | instskip(NEXT) | instid1(VALU_DEP_1)
	v_add_nc_u32_e32 v4, v3, v4
	v_add_nc_u32_e32 v5, v4, v5
	s_delay_alu instid0(VALU_DEP_1) | instskip(NEXT) | instid1(VALU_DEP_1)
	v_add_nc_u32_e32 v6, v5, v6
	v_add_nc_u32_e32 v45, v6, v7
	;; [unrolled: 3-line block ×3, first 2 shown]
	s_delay_alu instid0(VALU_DEP_1)
	v_add_nc_u32_e32 v1, v0, v2
	v_lshlrev_b32_e32 v2, 2, v40
	ds_store_2addr_b64 v16, v[3:4], v[5:6] offset0:1 offset1:2
	ds_store_2addr_b64 v31, v[45:46], v[0:1] offset0:2 offset1:3
	s_waitcnt lgkmcnt(0)
	s_barrier
	buffer_gl0_inv
	ds_load_b32 v0, v44
	ds_load_b32 v1, v41
	v_lshlrev_b32_e32 v3, 2, v43
	v_lshlrev_b32_e32 v4, 2, v42
	s_waitcnt lgkmcnt(0)
	v_lshlrev_b32_e32 v0, 2, v0
	v_lshl_add_u32 v2, v1, 2, v2
	s_delay_alu instid0(VALU_DEP_2)
	v_add3_u32 v3, v3, v4, v0
	s_cbranch_scc0 .LBB14_2
; %bb.14:
                                        ; implicit-def: $vgpr1
                                        ; implicit-def: $sgpr1
.LBB14_15:
	s_mov_b32 s5, 0
	s_barrier
	buffer_gl0_inv
	ds_store_b32 v2, v38
	ds_store_b32 v3, v39
	s_waitcnt lgkmcnt(0)
	s_barrier
.LBB14_16:
	s_and_b32 vcc_lo, exec_lo, s5
	s_cbranch_vccz .LBB14_32
; %bb.17:
	s_barrier
	buffer_gl0_inv
	s_load_b64 s[0:1], s[16:17], 0x0
	v_mov_b32_e32 v0, 0
	ds_bpermute_b32 v4, v27, v29
	ds_bpermute_b32 v5, v27, v30
	;; [unrolled: 1-line block ×4, first 2 shown]
	v_min_u32_e32 v2, 32, v25
	v_cmp_gt_i32_e32 vcc_lo, 0, v21
	v_cmp_eq_u32_e64 s5, 0, v23
	v_cmp_lt_u32_e64 s4, 7, v22
	v_cmp_eq_u32_e64 s8, 0, v17
	v_or_b32_e32 v23, 31, v2
	s_mov_b32 s12, 0
	v_or_b32_e32 v27, 8, v16
	s_mov_b32 s13, s12
	v_cmp_gt_u32_e64 s6, 2, v10
	v_cmp_lt_u32_e64 s7, 31, v10
	v_cmp_eq_u32_e64 s9, 0, v10
	v_cmp_eq_u32_e64 s10, v23, v10
	v_add_nc_u32_e32 v20, v16, v20
	s_waitcnt lgkmcnt(0)
	s_cmp_lt_u32 s15, s1
	s_mov_b32 s15, s12
	s_cselect_b32 s1, 14, 20
	s_delay_alu instid0(SALU_CYCLE_1)
	s_add_u32 s2, s16, s1
	s_addc_u32 s3, s17, 0
	s_cmp_lt_u32 s14, s0
	global_load_u16 v1, v0, s[2:3]
	s_cselect_b32 s0, 12, 18
	v_cmp_lt_u32_e64 s2, 1, v22
	s_add_u32 s0, s16, s0
	s_addc_u32 s1, s17, 0
	v_cmp_lt_u32_e64 s3, 3, v22
	global_load_u16 v0, v0, s[0:1]
	v_cmp_eq_u32_e64 s1, 0, v22
	v_dual_cndmask_b32 v22, v21, v17 :: v_dual_lshlrev_b32 v21, 2, v26
	v_and_b32_e32 v17, 0x7c, v24
	s_mov_b32 s14, s12
	s_delay_alu instid0(SALU_CYCLE_1)
	v_dual_mov_b32 v13, s14 :: v_dual_mov_b32 v14, s15
	s_waitcnt vmcnt(1)
	v_mad_u32_u24 v1, v18, v1, v19
	v_lshlrev_b32_e32 v18, 2, v22
	v_add_nc_u32_e32 v19, -4, v17
	s_waitcnt vmcnt(0)
	s_delay_alu instid0(VALU_DEP_3) | instskip(SKIP_3) | instid1(VALU_DEP_4)
	v_mad_u64_u32 v[2:3], null, v1, v0, v[10:11]
	v_dual_mov_b32 v11, s12 :: v_dual_mov_b32 v12, s13
	v_cndmask_b32_e64 v0, v5, v4, s11
	v_cndmask_b32_e64 v1, v7, v6, s11
	v_lshrrev_b32_e32 v22, 5, v2
	s_branch .LBB14_19
.LBB14_18:                              ;   in Loop: Header=BB14_19 Depth=1
	s_delay_alu instid0(VALU_DEP_2) | instskip(NEXT) | instid1(VALU_DEP_2)
	v_lshlrev_b32_e32 v0, 2, v3
	v_lshlrev_b32_e32 v1, 2, v2
	s_barrier
	buffer_gl0_inv
	ds_store_b32 v0, v10
	ds_store_b32 v1, v23
	s_waitcnt lgkmcnt(0)
	s_barrier
	buffer_gl0_inv
	ds_load_2addr_b32 v[0:1], v21 offset1:32
	s_add_i32 s12, s12, 8
	s_waitcnt lgkmcnt(0)
	s_barrier
	buffer_gl0_inv
	s_cbranch_execz .LBB14_31
.LBB14_19:                              ; =>This Inner Loop Header: Depth=1
	s_delay_alu instid0(VALU_DEP_3)
	v_mov_b32_e32 v10, v0
	ds_store_2addr_b64 v16, v[11:12], v[13:14] offset0:1 offset1:2
	ds_store_2addr_b64 v27, v[11:12], v[13:14] offset0:2 offset1:3
	s_waitcnt lgkmcnt(0)
	s_barrier
	buffer_gl0_inv
	v_cmp_ne_u32_e32 vcc_lo, 0x80000000, v10
	; wave barrier
	v_cndmask_b32_e32 v2, 0x7fffffff, v10, vcc_lo
	s_delay_alu instid0(VALU_DEP_1) | instskip(NEXT) | instid1(VALU_DEP_1)
	v_lshrrev_b32_e32 v3, s12, v2
	v_lshlrev_b32_e32 v7, 28, v3
	v_bfe_u32 v0, v2, s12, 1
	v_lshlrev_b32_e32 v5, 30, v3
	v_lshlrev_b32_e32 v6, 29, v3
	v_lshlrev_b32_e32 v23, 27, v3
	v_lshlrev_b32_e32 v24, 26, v3
	v_add_co_u32 v0, s0, v0, -1
	s_delay_alu instid0(VALU_DEP_1)
	v_cndmask_b32_e64 v4, 0, 1, s0
	v_cmp_gt_i32_e64 s0, 0, v5
	v_lshlrev_b32_e32 v25, 25, v3
	v_lshlrev_b32_e32 v3, 24, v3
	v_bfe_u32 v2, v2, s12, 8
	v_cmp_ne_u32_e32 vcc_lo, 0, v4
	v_not_b32_e32 v4, v5
	v_not_b32_e32 v5, v6
	v_xor_b32_e32 v0, vcc_lo, v0
	s_delay_alu instid0(VALU_DEP_3)
	v_ashrrev_i32_e32 v4, 31, v4
	v_cmp_gt_i32_e32 vcc_lo, 0, v6
	v_not_b32_e32 v6, v7
	v_ashrrev_i32_e32 v5, 31, v5
	v_and_b32_e32 v0, exec_lo, v0
	v_xor_b32_e32 v4, s0, v4
	v_cmp_gt_i32_e64 s0, 0, v7
	v_not_b32_e32 v7, v23
	v_ashrrev_i32_e32 v6, 31, v6
	v_xor_b32_e32 v5, vcc_lo, v5
	v_and_b32_e32 v0, v0, v4
	v_cmp_gt_i32_e32 vcc_lo, 0, v23
	v_mov_b32_e32 v23, v1
	v_not_b32_e32 v4, v24
	v_ashrrev_i32_e32 v7, 31, v7
	v_xor_b32_e32 v6, s0, v6
	v_and_b32_e32 v0, v0, v5
	v_cmp_gt_i32_e64 s0, 0, v24
	v_not_b32_e32 v5, v25
	v_ashrrev_i32_e32 v4, 31, v4
	v_xor_b32_e32 v7, vcc_lo, v7
	v_and_b32_e32 v0, v0, v6
	v_cmp_gt_i32_e32 vcc_lo, 0, v25
	v_not_b32_e32 v6, v3
	v_ashrrev_i32_e32 v5, 31, v5
	v_xor_b32_e32 v4, s0, v4
	v_and_b32_e32 v0, v0, v7
	v_cmp_gt_i32_e64 s0, 0, v3
	v_ashrrev_i32_e32 v3, 31, v6
	v_xor_b32_e32 v5, vcc_lo, v5
	v_lshl_add_u32 v1, v2, 1, v22
	v_and_b32_e32 v0, v0, v4
	s_delay_alu instid0(VALU_DEP_4) | instskip(NEXT) | instid1(VALU_DEP_3)
	v_xor_b32_e32 v3, s0, v3
	v_lshl_add_u32 v25, v1, 2, 8
	s_delay_alu instid0(VALU_DEP_3) | instskip(NEXT) | instid1(VALU_DEP_1)
	v_and_b32_e32 v0, v0, v5
	v_and_b32_e32 v0, v0, v3
	s_delay_alu instid0(VALU_DEP_1) | instskip(SKIP_1) | instid1(VALU_DEP_2)
	v_mbcnt_lo_u32_b32 v24, v0, 0
	v_cmp_ne_u32_e64 s0, 0, v0
	v_cmp_eq_u32_e32 vcc_lo, 0, v24
	s_delay_alu instid0(VALU_DEP_2) | instskip(NEXT) | instid1(SALU_CYCLE_1)
	s_and_b32 s13, s0, vcc_lo
	s_and_saveexec_b32 s0, s13
	s_cbranch_execz .LBB14_21
; %bb.20:                               ;   in Loop: Header=BB14_19 Depth=1
	v_bcnt_u32_b32 v0, v0, 0
	ds_store_b32 v25, v0
.LBB14_21:                              ;   in Loop: Header=BB14_19 Depth=1
	s_or_b32 exec_lo, exec_lo, s0
	v_cmp_ne_u32_e32 vcc_lo, 0x80000000, v23
	; wave barrier
	v_cndmask_b32_e32 v0, 0x7fffffff, v23, vcc_lo
	s_delay_alu instid0(VALU_DEP_1) | instskip(NEXT) | instid1(VALU_DEP_1)
	v_lshrrev_b32_e32 v2, s12, v0
	v_lshlrev_b32_e32 v5, 29, v2
	v_bfe_u32 v1, v0, s12, 1
	v_lshlrev_b32_e32 v4, 30, v2
	v_lshlrev_b32_e32 v6, 28, v2
	;; [unrolled: 1-line block ×4, first 2 shown]
	v_add_co_u32 v1, s0, v1, -1
	s_delay_alu instid0(VALU_DEP_1)
	v_cndmask_b32_e64 v3, 0, 1, s0
	v_cmp_gt_i32_e64 s0, 0, v4
	v_lshlrev_b32_e32 v28, 25, v2
	v_lshlrev_b32_e32 v2, 24, v2
	v_bfe_u32 v0, v0, s12, 8
	v_cmp_ne_u32_e32 vcc_lo, 0, v3
	v_not_b32_e32 v3, v4
	v_not_b32_e32 v4, v5
	s_delay_alu instid0(VALU_DEP_4) | instskip(SKIP_1) | instid1(VALU_DEP_4)
	v_lshlrev_b32_e32 v0, 1, v0
	v_xor_b32_e32 v1, vcc_lo, v1
	v_ashrrev_i32_e32 v3, 31, v3
	v_cmp_gt_i32_e32 vcc_lo, 0, v5
	v_not_b32_e32 v5, v6
	v_ashrrev_i32_e32 v4, 31, v4
	v_and_b32_e32 v1, exec_lo, v1
	v_xor_b32_e32 v3, s0, v3
	v_cmp_gt_i32_e64 s0, 0, v6
	v_not_b32_e32 v6, v7
	v_ashrrev_i32_e32 v5, 31, v5
	v_xor_b32_e32 v4, vcc_lo, v4
	v_and_b32_e32 v1, v1, v3
	v_cmp_gt_i32_e32 vcc_lo, 0, v7
	v_not_b32_e32 v3, v26
	v_ashrrev_i32_e32 v6, 31, v6
	v_xor_b32_e32 v5, s0, v5
	v_and_b32_e32 v1, v1, v4
	v_cmp_gt_i32_e64 s0, 0, v26
	v_not_b32_e32 v4, v28
	v_ashrrev_i32_e32 v3, 31, v3
	v_xor_b32_e32 v6, vcc_lo, v6
	v_and_b32_e32 v1, v1, v5
	v_cmp_gt_i32_e32 vcc_lo, 0, v28
	v_not_b32_e32 v5, v2
	v_ashrrev_i32_e32 v4, 31, v4
	v_xor_b32_e32 v3, s0, v3
	v_and_b32_e32 v1, v1, v6
	v_cmp_gt_i32_e64 s0, 0, v2
	v_ashrrev_i32_e32 v2, 31, v5
	v_xor_b32_e32 v4, vcc_lo, v4
	s_delay_alu instid0(VALU_DEP_4) | instskip(SKIP_1) | instid1(VALU_DEP_4)
	v_and_b32_e32 v1, v1, v3
	v_add_lshl_u32 v3, v0, v22, 2
	v_xor_b32_e32 v0, s0, v2
	s_delay_alu instid0(VALU_DEP_3) | instskip(SKIP_3) | instid1(VALU_DEP_1)
	v_and_b32_e32 v1, v1, v4
	ds_load_b32 v26, v3 offset:8
	v_add_nc_u32_e32 v29, 8, v3
	; wave barrier
	v_and_b32_e32 v0, v1, v0
	v_mbcnt_lo_u32_b32 v28, v0, 0
	v_cmp_ne_u32_e64 s0, 0, v0
	s_delay_alu instid0(VALU_DEP_2) | instskip(NEXT) | instid1(VALU_DEP_2)
	v_cmp_eq_u32_e32 vcc_lo, 0, v28
	s_and_b32 s13, s0, vcc_lo
	s_delay_alu instid0(SALU_CYCLE_1)
	s_and_saveexec_b32 s0, s13
	s_cbranch_execz .LBB14_23
; %bb.22:                               ;   in Loop: Header=BB14_19 Depth=1
	s_waitcnt lgkmcnt(0)
	v_bcnt_u32_b32 v0, v0, v26
	ds_store_b32 v29, v0
.LBB14_23:                              ;   in Loop: Header=BB14_19 Depth=1
	s_or_b32 exec_lo, exec_lo, s0
	; wave barrier
	s_waitcnt lgkmcnt(0)
	s_barrier
	buffer_gl0_inv
	ds_load_2addr_b64 v[4:7], v16 offset0:1 offset1:2
	ds_load_2addr_b64 v[0:3], v27 offset0:2 offset1:3
	s_waitcnt lgkmcnt(1)
	v_add_nc_u32_e32 v30, v5, v4
	s_delay_alu instid0(VALU_DEP_1) | instskip(SKIP_1) | instid1(VALU_DEP_1)
	v_add3_u32 v30, v30, v6, v7
	s_waitcnt lgkmcnt(0)
	v_add3_u32 v30, v30, v0, v1
	s_delay_alu instid0(VALU_DEP_1) | instskip(NEXT) | instid1(VALU_DEP_1)
	v_add3_u32 v3, v30, v2, v3
	v_mov_b32_dpp v30, v3 row_shr:1 row_mask:0xf bank_mask:0xf
	s_delay_alu instid0(VALU_DEP_1) | instskip(NEXT) | instid1(VALU_DEP_1)
	v_cndmask_b32_e64 v30, v30, 0, s1
	v_add_nc_u32_e32 v3, v30, v3
	s_delay_alu instid0(VALU_DEP_1) | instskip(NEXT) | instid1(VALU_DEP_1)
	v_mov_b32_dpp v30, v3 row_shr:2 row_mask:0xf bank_mask:0xf
	v_cndmask_b32_e64 v30, 0, v30, s2
	s_delay_alu instid0(VALU_DEP_1) | instskip(NEXT) | instid1(VALU_DEP_1)
	v_add_nc_u32_e32 v3, v3, v30
	v_mov_b32_dpp v30, v3 row_shr:4 row_mask:0xf bank_mask:0xf
	s_delay_alu instid0(VALU_DEP_1) | instskip(NEXT) | instid1(VALU_DEP_1)
	v_cndmask_b32_e64 v30, 0, v30, s3
	v_add_nc_u32_e32 v3, v3, v30
	s_delay_alu instid0(VALU_DEP_1) | instskip(NEXT) | instid1(VALU_DEP_1)
	v_mov_b32_dpp v30, v3 row_shr:8 row_mask:0xf bank_mask:0xf
	v_cndmask_b32_e64 v30, 0, v30, s4
	s_delay_alu instid0(VALU_DEP_1) | instskip(SKIP_3) | instid1(VALU_DEP_1)
	v_add_nc_u32_e32 v3, v3, v30
	ds_swizzle_b32 v30, v3 offset:swizzle(BROADCAST,32,15)
	s_waitcnt lgkmcnt(0)
	v_cndmask_b32_e64 v30, v30, 0, s5
	v_add_nc_u32_e32 v3, v3, v30
	s_and_saveexec_b32 s0, s10
	s_cbranch_execz .LBB14_25
; %bb.24:                               ;   in Loop: Header=BB14_19 Depth=1
	ds_store_b32 v17, v3
.LBB14_25:                              ;   in Loop: Header=BB14_19 Depth=1
	s_or_b32 exec_lo, exec_lo, s0
	s_waitcnt lgkmcnt(0)
	s_barrier
	buffer_gl0_inv
	s_and_saveexec_b32 s0, s6
	s_cbranch_execz .LBB14_27
; %bb.26:                               ;   in Loop: Header=BB14_19 Depth=1
	ds_load_b32 v30, v20
	s_waitcnt lgkmcnt(0)
	v_mov_b32_dpp v31, v30 row_shr:1 row_mask:0xf bank_mask:0xf
	s_delay_alu instid0(VALU_DEP_1) | instskip(NEXT) | instid1(VALU_DEP_1)
	v_cndmask_b32_e64 v31, v31, 0, s11
	v_add_nc_u32_e32 v30, v31, v30
	ds_store_b32 v20, v30
.LBB14_27:                              ;   in Loop: Header=BB14_19 Depth=1
	s_or_b32 exec_lo, exec_lo, s0
	v_mov_b32_e32 v30, 0
	s_waitcnt lgkmcnt(0)
	s_barrier
	buffer_gl0_inv
	s_and_saveexec_b32 s0, s7
	s_cbranch_execz .LBB14_29
; %bb.28:                               ;   in Loop: Header=BB14_19 Depth=1
	ds_load_b32 v30, v19
.LBB14_29:                              ;   in Loop: Header=BB14_19 Depth=1
	s_or_b32 exec_lo, exec_lo, s0
	s_waitcnt lgkmcnt(0)
	v_add_nc_u32_e32 v3, v30, v3
	s_cmp_gt_u32 s12, 23
	ds_bpermute_b32 v3, v18, v3
	s_waitcnt lgkmcnt(0)
	v_cndmask_b32_e64 v3, v3, v30, s8
	s_delay_alu instid0(VALU_DEP_1) | instskip(NEXT) | instid1(VALU_DEP_1)
	v_cndmask_b32_e64 v3, v3, 0, s9
	v_add_nc_u32_e32 v4, v3, v4
	s_delay_alu instid0(VALU_DEP_1) | instskip(NEXT) | instid1(VALU_DEP_1)
	v_add_nc_u32_e32 v5, v4, v5
	v_add_nc_u32_e32 v6, v5, v6
	s_delay_alu instid0(VALU_DEP_1) | instskip(NEXT) | instid1(VALU_DEP_1)
	v_add_nc_u32_e32 v30, v6, v7
	;; [unrolled: 3-line block ×3, first 2 shown]
	v_add_nc_u32_e32 v1, v0, v2
	ds_store_2addr_b64 v16, v[3:4], v[5:6] offset0:1 offset1:2
	ds_store_2addr_b64 v27, v[30:31], v[0:1] offset0:2 offset1:3
	s_waitcnt lgkmcnt(0)
	s_barrier
	buffer_gl0_inv
	ds_load_b32 v0, v25
	ds_load_b32 v1, v29
	s_waitcnt lgkmcnt(1)
	v_add_nc_u32_e32 v3, v0, v24
	s_waitcnt lgkmcnt(0)
	v_add3_u32 v2, v28, v26, v1
	s_cbranch_scc0 .LBB14_18
; %bb.30:
                                        ; implicit-def: $vgpr1
                                        ; implicit-def: $sgpr12
.LBB14_31:
	s_delay_alu instid0(VALU_DEP_2) | instskip(NEXT) | instid1(VALU_DEP_2)
	v_lshlrev_b32_e32 v0, 2, v3
	v_lshlrev_b32_e32 v1, 2, v2
	s_barrier
	buffer_gl0_inv
	ds_store_b32 v0, v10
	ds_store_b32 v1, v23
	s_waitcnt lgkmcnt(0)
	s_barrier
.LBB14_32:
	v_lshlrev_b32_e32 v0, 2, v15
	buffer_gl0_inv
	ds_load_b64 v[0:1], v0
	s_waitcnt lgkmcnt(0)
	v_cmp_gt_i32_e32 vcc_lo, 0, v0
	v_cndmask_b32_e64 v2, 0x7fffffff, 0, vcc_lo
	v_cmp_gt_i32_e32 vcc_lo, 0, v1
	s_delay_alu instid0(VALU_DEP_2) | instskip(SKIP_1) | instid1(VALU_DEP_1)
	v_xor_b32_e32 v0, v2, v0
	v_cndmask_b32_e64 v3, 0x7fffffff, 0, vcc_lo
	v_xor_b32_e32 v1, v3, v1
	global_store_b64 v[8:9], v[0:1], off
	s_nop 0
	s_sendmsg sendmsg(MSG_DEALLOC_VGPRS)
	s_endpgm
	.section	.rodata,"a",@progbits
	.p2align	6, 0x0
	.amdhsa_kernel _Z15sort_key_kernelILj64ELj2ELb0ELb1EfEvPT3_jj
		.amdhsa_group_segment_fixed_size 2064
		.amdhsa_private_segment_fixed_size 0
		.amdhsa_kernarg_size 272
		.amdhsa_user_sgpr_count 14
		.amdhsa_user_sgpr_dispatch_ptr 0
		.amdhsa_user_sgpr_queue_ptr 0
		.amdhsa_user_sgpr_kernarg_segment_ptr 1
		.amdhsa_user_sgpr_dispatch_id 0
		.amdhsa_user_sgpr_private_segment_size 0
		.amdhsa_wavefront_size32 1
		.amdhsa_uses_dynamic_stack 0
		.amdhsa_enable_private_segment 0
		.amdhsa_system_sgpr_workgroup_id_x 1
		.amdhsa_system_sgpr_workgroup_id_y 1
		.amdhsa_system_sgpr_workgroup_id_z 0
		.amdhsa_system_sgpr_workgroup_info 0
		.amdhsa_system_vgpr_workitem_id 2
		.amdhsa_next_free_vgpr 47
		.amdhsa_next_free_sgpr 22
		.amdhsa_reserve_vcc 1
		.amdhsa_float_round_mode_32 0
		.amdhsa_float_round_mode_16_64 0
		.amdhsa_float_denorm_mode_32 3
		.amdhsa_float_denorm_mode_16_64 3
		.amdhsa_dx10_clamp 1
		.amdhsa_ieee_mode 1
		.amdhsa_fp16_overflow 0
		.amdhsa_workgroup_processor_mode 1
		.amdhsa_memory_ordered 1
		.amdhsa_forward_progress 0
		.amdhsa_shared_vgpr_count 0
		.amdhsa_exception_fp_ieee_invalid_op 0
		.amdhsa_exception_fp_denorm_src 0
		.amdhsa_exception_fp_ieee_div_zero 0
		.amdhsa_exception_fp_ieee_overflow 0
		.amdhsa_exception_fp_ieee_underflow 0
		.amdhsa_exception_fp_ieee_inexact 0
		.amdhsa_exception_int_div_zero 0
	.end_amdhsa_kernel
	.section	.text._Z15sort_key_kernelILj64ELj2ELb0ELb1EfEvPT3_jj,"axG",@progbits,_Z15sort_key_kernelILj64ELj2ELb0ELb1EfEvPT3_jj,comdat
.Lfunc_end14:
	.size	_Z15sort_key_kernelILj64ELj2ELb0ELb1EfEvPT3_jj, .Lfunc_end14-_Z15sort_key_kernelILj64ELj2ELb0ELb1EfEvPT3_jj
                                        ; -- End function
	.section	.AMDGPU.csdata,"",@progbits
; Kernel info:
; codeLenInByte = 3732
; NumSgprs: 24
; NumVgprs: 47
; ScratchSize: 0
; MemoryBound: 0
; FloatMode: 240
; IeeeMode: 1
; LDSByteSize: 2064 bytes/workgroup (compile time only)
; SGPRBlocks: 2
; VGPRBlocks: 5
; NumSGPRsForWavesPerEU: 24
; NumVGPRsForWavesPerEU: 47
; Occupancy: 16
; WaveLimiterHint : 0
; COMPUTE_PGM_RSRC2:SCRATCH_EN: 0
; COMPUTE_PGM_RSRC2:USER_SGPR: 14
; COMPUTE_PGM_RSRC2:TRAP_HANDLER: 0
; COMPUTE_PGM_RSRC2:TGID_X_EN: 1
; COMPUTE_PGM_RSRC2:TGID_Y_EN: 1
; COMPUTE_PGM_RSRC2:TGID_Z_EN: 0
; COMPUTE_PGM_RSRC2:TIDIG_COMP_CNT: 2
	.section	.text._Z15sort_key_kernelILj255ELj1ELb0ELb0EhEvPT3_jj,"axG",@progbits,_Z15sort_key_kernelILj255ELj1ELb0ELb0EhEvPT3_jj,comdat
	.protected	_Z15sort_key_kernelILj255ELj1ELb0ELb0EhEvPT3_jj ; -- Begin function _Z15sort_key_kernelILj255ELj1ELb0ELb0EhEvPT3_jj
	.globl	_Z15sort_key_kernelILj255ELj1ELb0ELb0EhEvPT3_jj
	.p2align	8
	.type	_Z15sort_key_kernelILj255ELj1ELb0ELb0EhEvPT3_jj,@function
_Z15sort_key_kernelILj255ELj1ELb0ELb0EhEvPT3_jj: ; @_Z15sort_key_kernelILj255ELj1ELb0ELb0EhEvPT3_jj
; %bb.0:
	s_load_b128 s[16:19], s[0:1], 0x0
	s_mulk_i32 s15, 0xff
	v_lshlrev_b32_e32 v11, 5, v0
	v_mbcnt_lo_u32_b32 v14, -1, 0
	v_and_b32_e32 v15, 0xe0, v0
	v_lshlrev_b32_e32 v12, 2, v0
	v_cmp_gt_u32_e64 s2, 0x3fc, v0
	v_cmp_gt_u32_e64 s3, 0x2fd, v0
	s_waitcnt lgkmcnt(0)
	s_add_u32 s16, s16, s15
	s_addc_u32 s17, s17, 0
	s_cmp_lg_u32 s18, 0
	global_load_u8 v13, v0, s[16:17]
	s_cselect_b32 s0, -1, 0
	s_cmp_lg_u32 s19, 8
	s_cselect_b32 s1, -1, 0
	s_delay_alu instid0(SALU_CYCLE_1)
	s_or_b32 s0, s0, s1
	v_cmp_lt_u32_e64 s1, 31, v0
	s_and_b32 vcc_lo, exec_lo, s0
	v_cmp_gt_u32_e64 s0, 8, v0
	s_cbranch_vccz .LBB15_18
; %bb.1:
	v_add_nc_u32_e32 v3, -1, v14
	v_dual_mov_b32 v18, 0 :: v_dual_and_b32 v1, 15, v14
	v_min_u32_e32 v2, 0xdf, v15
	v_and_b32_e32 v4, 16, v14
	s_delay_alu instid0(VALU_DEP_4) | instskip(NEXT) | instid1(VALU_DEP_4)
	v_cmp_gt_i32_e32 vcc_lo, 0, v3
	v_cmp_eq_u32_e64 s4, 0, v1
	v_cmp_lt_u32_e64 s5, 1, v1
	v_cmp_lt_u32_e64 s6, 3, v1
	;; [unrolled: 1-line block ×3, first 2 shown]
	v_cndmask_b32_e32 v1, v3, v14, vcc_lo
	v_add_nc_u32_e32 v2, 31, v2
	v_and_b32_e32 v3, 7, v14
	v_cmp_eq_u32_e64 s10, 0, v14
	v_cmp_gt_u32_e64 s14, 0x1fe, v0
	v_lshlrev_b32_e32 v9, 2, v1
	v_mul_u32_u24_e32 v1, 3, v0
	v_cmp_eq_u32_e64 s9, v2, v0
	v_lshrrev_b32_e32 v2, 3, v0
	v_cmp_eq_u32_e64 s11, 0, v3
	v_cmp_lt_u32_e64 s12, 1, v3
	v_add_nc_u32_e32 v16, v0, v1
	v_cmp_lt_u32_e64 s13, 3, v3
	s_waitcnt vmcnt(0)
	v_mov_b32_e32 v3, v13
	v_cmp_eq_u32_e64 s8, 0, v4
	v_and_b32_e32 v10, 28, v2
	v_cmp_gt_u32_e64 s15, 0xff, v0
	v_add_nc_u32_e32 v19, 0x7f8, v16
	s_sub_i32 s20, s19, s18
	s_branch .LBB15_3
.LBB15_2:                               ;   in Loop: Header=BB15_3 Depth=1
	s_delay_alu instid0(VALU_DEP_1)
	v_add_nc_u32_e32 v3, v1, v2
	s_barrier
	buffer_gl0_inv
	s_add_i32 s20, s20, -4
	ds_store_b8 v3, v17
	s_waitcnt lgkmcnt(0)
	s_barrier
	buffer_gl0_inv
	ds_load_u8 v3, v0
	s_waitcnt lgkmcnt(0)
	s_barrier
	buffer_gl0_inv
	s_cbranch_execz .LBB15_16
.LBB15_3:                               ; =>This Inner Loop Header: Depth=1
	v_mov_b32_e32 v17, v3
	ds_store_2addr_b32 v16, v18, v18 offset1:255
	ds_store_2addr_b32 v19, v18, v18 offset1:255
	s_and_saveexec_b32 s21, s2
	s_cbranch_execz .LBB15_8
; %bb.4:                                ;   in Loop: Header=BB15_3 Depth=1
	ds_store_b32 v16, v18 offset:4080
	s_and_b32 exec_lo, exec_lo, s3
	s_cbranch_execz .LBB15_8
; %bb.5:                                ;   in Loop: Header=BB15_3 Depth=1
	ds_store_b32 v16, v18 offset:5100
	s_and_b32 exec_lo, exec_lo, s14
	;; [unrolled: 4-line block ×3, first 2 shown]
	s_cbranch_execz .LBB15_8
; %bb.7:                                ;   in Loop: Header=BB15_3 Depth=1
	ds_store_b32 v16, v18 offset:7140
.LBB15_8:                               ;   in Loop: Header=BB15_3 Depth=1
	s_or_b32 exec_lo, exec_lo, s21
	v_and_b32_e32 v1, 0xff, v17
	s_min_u32 s21, s20, 4
	s_delay_alu instid0(VALU_DEP_1) | instskip(NEXT) | instid1(VALU_DEP_1)
	v_lshrrev_b32_e32 v1, s18, v1
	v_bfe_u32 v1, v1, 0, s21
	s_delay_alu instid0(VALU_DEP_1) | instskip(SKIP_1) | instid1(VALU_DEP_2)
	v_and_b32_e32 v2, 7, v1
	v_lshrrev_b32_e32 v1, 3, v1
	v_mul_u32_u24_e32 v2, 0xff, v2
	s_delay_alu instid0(VALU_DEP_1) | instskip(NEXT) | instid1(VALU_DEP_1)
	v_add_lshl_u32 v2, v2, v0, 1
	v_add_lshl_u32 v20, v2, v1, 1
	ds_load_u16 v21, v20
	s_waitcnt lgkmcnt(0)
	v_add_nc_u16 v1, v21, 1
	ds_store_b16 v20, v1
	s_waitcnt lgkmcnt(0)
	s_barrier
	buffer_gl0_inv
	ds_load_2addr_b64 v[5:8], v11 offset1:1
	ds_load_2addr_b64 v[1:4], v11 offset0:2 offset1:3
	s_waitcnt lgkmcnt(1)
	v_add_nc_u32_e32 v22, v6, v5
	s_delay_alu instid0(VALU_DEP_1) | instskip(SKIP_1) | instid1(VALU_DEP_1)
	v_add3_u32 v22, v22, v7, v8
	s_waitcnt lgkmcnt(0)
	v_add3_u32 v22, v22, v1, v2
	s_delay_alu instid0(VALU_DEP_1) | instskip(NEXT) | instid1(VALU_DEP_1)
	v_add3_u32 v4, v22, v3, v4
	v_mov_b32_dpp v22, v4 row_shr:1 row_mask:0xf bank_mask:0xf
	s_delay_alu instid0(VALU_DEP_1) | instskip(NEXT) | instid1(VALU_DEP_1)
	v_cndmask_b32_e64 v22, v22, 0, s4
	v_add_nc_u32_e32 v4, v22, v4
	s_delay_alu instid0(VALU_DEP_1) | instskip(NEXT) | instid1(VALU_DEP_1)
	v_mov_b32_dpp v22, v4 row_shr:2 row_mask:0xf bank_mask:0xf
	v_cndmask_b32_e64 v22, 0, v22, s5
	s_delay_alu instid0(VALU_DEP_1) | instskip(NEXT) | instid1(VALU_DEP_1)
	v_add_nc_u32_e32 v4, v4, v22
	v_mov_b32_dpp v22, v4 row_shr:4 row_mask:0xf bank_mask:0xf
	s_delay_alu instid0(VALU_DEP_1) | instskip(NEXT) | instid1(VALU_DEP_1)
	v_cndmask_b32_e64 v22, 0, v22, s6
	v_add_nc_u32_e32 v4, v4, v22
	s_delay_alu instid0(VALU_DEP_1) | instskip(NEXT) | instid1(VALU_DEP_1)
	v_mov_b32_dpp v22, v4 row_shr:8 row_mask:0xf bank_mask:0xf
	v_cndmask_b32_e64 v22, 0, v22, s7
	s_delay_alu instid0(VALU_DEP_1) | instskip(SKIP_3) | instid1(VALU_DEP_1)
	v_add_nc_u32_e32 v4, v4, v22
	ds_swizzle_b32 v22, v4 offset:swizzle(BROADCAST,32,15)
	s_waitcnt lgkmcnt(0)
	v_cndmask_b32_e64 v22, v22, 0, s8
	v_add_nc_u32_e32 v4, v4, v22
	s_and_saveexec_b32 s21, s9
	s_cbranch_execz .LBB15_10
; %bb.9:                                ;   in Loop: Header=BB15_3 Depth=1
	ds_store_b32 v10, v4 offset:8160
.LBB15_10:                              ;   in Loop: Header=BB15_3 Depth=1
	s_or_b32 exec_lo, exec_lo, s21
	s_waitcnt lgkmcnt(0)
	s_barrier
	buffer_gl0_inv
	s_and_saveexec_b32 s21, s0
	s_cbranch_execz .LBB15_12
; %bb.11:                               ;   in Loop: Header=BB15_3 Depth=1
	ds_load_b32 v22, v12 offset:8160
	s_waitcnt lgkmcnt(0)
	v_mov_b32_dpp v23, v22 row_shr:1 row_mask:0xf bank_mask:0xf
	s_delay_alu instid0(VALU_DEP_1) | instskip(NEXT) | instid1(VALU_DEP_1)
	v_cndmask_b32_e64 v23, v23, 0, s11
	v_add_nc_u32_e32 v22, v23, v22
	s_delay_alu instid0(VALU_DEP_1) | instskip(NEXT) | instid1(VALU_DEP_1)
	v_mov_b32_dpp v23, v22 row_shr:2 row_mask:0xf bank_mask:0xf
	v_cndmask_b32_e64 v23, 0, v23, s12
	s_delay_alu instid0(VALU_DEP_1) | instskip(NEXT) | instid1(VALU_DEP_1)
	v_add_nc_u32_e32 v22, v22, v23
	v_mov_b32_dpp v23, v22 row_shr:4 row_mask:0xf bank_mask:0xf
	s_delay_alu instid0(VALU_DEP_1) | instskip(NEXT) | instid1(VALU_DEP_1)
	v_cndmask_b32_e64 v23, 0, v23, s13
	v_add_nc_u32_e32 v22, v22, v23
	ds_store_b32 v12, v22 offset:8160
.LBB15_12:                              ;   in Loop: Header=BB15_3 Depth=1
	s_or_b32 exec_lo, exec_lo, s21
	v_mov_b32_e32 v22, 0
	s_waitcnt lgkmcnt(0)
	s_barrier
	buffer_gl0_inv
	s_and_saveexec_b32 s21, s1
	s_cbranch_execz .LBB15_14
; %bb.13:                               ;   in Loop: Header=BB15_3 Depth=1
	ds_load_b32 v22, v10 offset:8156
.LBB15_14:                              ;   in Loop: Header=BB15_3 Depth=1
	s_or_b32 exec_lo, exec_lo, s21
	s_waitcnt lgkmcnt(0)
	v_add_nc_u32_e32 v4, v22, v4
	ds_load_b32 v23, v18 offset:8188
	s_add_i32 s18, s18, 4
	s_delay_alu instid0(SALU_CYCLE_1) | instskip(SKIP_3) | instid1(VALU_DEP_1)
	s_cmp_ge_u32 s18, s19
	ds_bpermute_b32 v4, v9, v4
	s_waitcnt lgkmcnt(0)
	v_cndmask_b32_e64 v4, v4, v22, s10
	v_lshl_add_u32 v4, v23, 16, v4
	s_delay_alu instid0(VALU_DEP_1) | instskip(NEXT) | instid1(VALU_DEP_1)
	v_add_nc_u32_e32 v5, v4, v5
	v_add_nc_u32_e32 v6, v5, v6
	s_delay_alu instid0(VALU_DEP_1) | instskip(NEXT) | instid1(VALU_DEP_1)
	v_add_nc_u32_e32 v7, v6, v7
	v_add_nc_u32_e32 v22, v7, v8
	;; [unrolled: 3-line block ×3, first 2 shown]
	s_delay_alu instid0(VALU_DEP_1)
	v_add_nc_u32_e32 v2, v1, v3
	ds_store_2addr_b64 v11, v[4:5], v[6:7] offset1:1
	ds_store_2addr_b64 v11, v[22:23], v[1:2] offset0:2 offset1:3
	s_waitcnt lgkmcnt(0)
	s_barrier
	buffer_gl0_inv
	ds_load_u16 v1, v20
	v_and_b32_e32 v2, 0xffff, v21
	s_waitcnt lgkmcnt(0)
	s_cbranch_scc0 .LBB15_2
; %bb.15:
                                        ; implicit-def: $vgpr3
                                        ; implicit-def: $sgpr20
.LBB15_16:
	s_delay_alu instid0(VALU_DEP_1)
	v_add_nc_u32_e32 v1, v1, v2
	s_barrier
	buffer_gl0_inv
	ds_store_b8 v1, v17
	s_waitcnt lgkmcnt(0)
	s_barrier
	v_add_co_u32 v9, s1, s16, v0
	s_delay_alu instid0(VALU_DEP_1)
	v_add_co_ci_u32_e64 v10, null, s17, 0, s1
.LBB15_17:
	s_waitcnt vmcnt(0)
	buffer_gl0_inv
	ds_load_u8 v0, v0
	s_waitcnt lgkmcnt(0)
	global_store_b8 v[9:10], v0, off
	s_nop 0
	s_sendmsg sendmsg(MSG_DEALLOC_VGPRS)
	s_endpgm
.LBB15_18:
	v_add_co_u32 v9, s1, s16, v0
	s_delay_alu instid0(VALU_DEP_1)
	v_add_co_ci_u32_e64 v10, null, s17, 0, s1
	s_cbranch_execz .LBB15_17
; %bb.19:
	v_mul_i32_i24_e32 v3, 0xffffffe4, v0
	v_mad_i32_i24 v2, 0xffffffe4, v0, v11
	v_mov_b32_e32 v1, 0
	v_cmp_gt_u32_e32 vcc_lo, 0x3fc, v0
	s_delay_alu instid0(VALU_DEP_4) | instskip(NEXT) | instid1(VALU_DEP_4)
	v_add_nc_u32_e32 v16, v11, v3
	v_add_nc_u32_e32 v4, 0x7f8, v2
	ds_store_2addr_b32 v2, v1, v1 offset1:255
	ds_store_2addr_b32 v4, v1, v1 offset1:255
	s_and_saveexec_b32 s1, vcc_lo
	s_cbranch_execz .LBB15_24
; %bb.20:
	v_cmp_gt_u32_e64 s0, 0x2fd, v0
	ds_store_b32 v16, v1 offset:4080
	s_and_b32 exec_lo, exec_lo, s0
	s_cbranch_execz .LBB15_24
; %bb.21:
	v_mov_b32_e32 v1, 0
	v_cmp_gt_u32_e64 s0, 0x1fe, v0
	ds_store_b32 v16, v1 offset:5100
	s_and_b32 exec_lo, exec_lo, s0
	s_cbranch_execz .LBB15_24
; %bb.22:
	v_cmp_gt_u32_e64 s0, 0xff, v0
	ds_store_b32 v16, v1 offset:6120
	s_and_b32 exec_lo, exec_lo, s0
	s_cbranch_execz .LBB15_24
; %bb.23:
	v_mov_b32_e32 v1, 0
	ds_store_b32 v16, v1 offset:7140
.LBB15_24:
	s_or_b32 exec_lo, exec_lo, s1
	s_waitcnt vmcnt(0)
	v_and_b32_e32 v1, 7, v13
	v_lshrrev_b16 v2, 2, v13
	v_and_b32_e32 v21, 16, v14
	s_delay_alu instid0(VALU_DEP_3) | instskip(NEXT) | instid1(VALU_DEP_3)
	v_mad_u32_u24 v1, 0xff, v1, v0
	v_and_b32_e32 v2, 2, v2
	s_delay_alu instid0(VALU_DEP_3) | instskip(NEXT) | instid1(VALU_DEP_2)
	v_cmp_eq_u32_e64 s10, 0, v21
	v_lshl_or_b32 v19, v1, 2, v2
	ds_load_u16 v20, v19
	s_waitcnt lgkmcnt(0)
	v_add_nc_u16 v1, v20, 1
	ds_store_b16 v19, v1
	s_waitcnt lgkmcnt(0)
	s_barrier
	buffer_gl0_inv
	ds_load_2addr_b64 v[5:8], v11 offset1:1
	ds_load_2addr_b64 v[1:4], v11 offset0:2 offset1:3
	s_waitcnt lgkmcnt(1)
	v_add_nc_u32_e32 v17, v6, v5
	s_delay_alu instid0(VALU_DEP_1) | instskip(SKIP_1) | instid1(VALU_DEP_1)
	v_add3_u32 v17, v17, v7, v8
	s_waitcnt lgkmcnt(0)
	v_add3_u32 v17, v17, v1, v2
	s_delay_alu instid0(VALU_DEP_1) | instskip(SKIP_1) | instid1(VALU_DEP_2)
	v_add3_u32 v4, v17, v3, v4
	v_and_b32_e32 v17, 15, v14
	v_mov_b32_dpp v18, v4 row_shr:1 row_mask:0xf bank_mask:0xf
	s_delay_alu instid0(VALU_DEP_2) | instskip(SKIP_3) | instid1(VALU_DEP_4)
	v_cmp_eq_u32_e64 s1, 0, v17
	v_cmp_lt_u32_e64 s3, 1, v17
	v_cmp_lt_u32_e64 s4, 3, v17
	;; [unrolled: 1-line block ×3, first 2 shown]
	v_cndmask_b32_e64 v18, v18, 0, s1
	s_delay_alu instid0(VALU_DEP_1) | instskip(NEXT) | instid1(VALU_DEP_1)
	v_add_nc_u32_e32 v4, v18, v4
	v_mov_b32_dpp v18, v4 row_shr:2 row_mask:0xf bank_mask:0xf
	s_delay_alu instid0(VALU_DEP_1) | instskip(NEXT) | instid1(VALU_DEP_1)
	v_cndmask_b32_e64 v18, 0, v18, s3
	v_add_nc_u32_e32 v4, v4, v18
	s_delay_alu instid0(VALU_DEP_1) | instskip(NEXT) | instid1(VALU_DEP_1)
	v_mov_b32_dpp v18, v4 row_shr:4 row_mask:0xf bank_mask:0xf
	v_cndmask_b32_e64 v18, 0, v18, s4
	s_delay_alu instid0(VALU_DEP_1) | instskip(NEXT) | instid1(VALU_DEP_1)
	v_add_nc_u32_e32 v4, v4, v18
	v_mov_b32_dpp v18, v4 row_shr:8 row_mask:0xf bank_mask:0xf
	s_delay_alu instid0(VALU_DEP_1) | instskip(NEXT) | instid1(VALU_DEP_1)
	v_cndmask_b32_e64 v17, 0, v18, s5
	v_add_nc_u32_e32 v18, v4, v17
	v_min_u32_e32 v4, 0xdf, v15
	v_bfe_i32 v15, v14, 4, 1
	ds_swizzle_b32 v17, v18 offset:swizzle(BROADCAST,32,15)
	v_add_nc_u32_e32 v22, 31, v4
	v_lshrrev_b32_e32 v4, 5, v0
	s_delay_alu instid0(VALU_DEP_2) | instskip(SKIP_2) | instid1(VALU_DEP_3)
	v_cmp_eq_u32_e64 s7, v22, v0
	s_waitcnt lgkmcnt(0)
	v_and_b32_e32 v15, v15, v17
	v_lshlrev_b32_e32 v17, 2, v4
	s_delay_alu instid0(VALU_DEP_2)
	v_add_nc_u32_e32 v18, v18, v15
	s_and_saveexec_b32 s0, s7
	s_cbranch_execz .LBB15_26
; %bb.25:
	ds_store_b32 v17, v18 offset:8160
.LBB15_26:
	s_or_b32 exec_lo, exec_lo, s0
	v_and_b32_e32 v15, 7, v14
	v_cmp_gt_u32_e64 s8, 8, v0
	s_waitcnt lgkmcnt(0)
	s_barrier
	buffer_gl0_inv
	v_cmp_lt_u32_e64 s2, 1, v15
	v_cmp_eq_u32_e64 s6, 0, v15
	v_cmp_lt_u32_e64 s0, 3, v15
	s_and_saveexec_b32 s9, s8
	s_cbranch_execz .LBB15_28
; %bb.27:
	ds_load_b32 v15, v16 offset:8160
	s_waitcnt lgkmcnt(0)
	v_mov_b32_dpp v21, v15 row_shr:1 row_mask:0xf bank_mask:0xf
	s_delay_alu instid0(VALU_DEP_1) | instskip(NEXT) | instid1(VALU_DEP_1)
	v_cndmask_b32_e64 v21, v21, 0, s6
	v_add_nc_u32_e32 v15, v21, v15
	s_delay_alu instid0(VALU_DEP_1) | instskip(NEXT) | instid1(VALU_DEP_1)
	v_mov_b32_dpp v21, v15 row_shr:2 row_mask:0xf bank_mask:0xf
	v_cndmask_b32_e64 v21, 0, v21, s2
	s_delay_alu instid0(VALU_DEP_1) | instskip(NEXT) | instid1(VALU_DEP_1)
	v_add_nc_u32_e32 v15, v15, v21
	v_mov_b32_dpp v21, v15 row_shr:4 row_mask:0xf bank_mask:0xf
	s_delay_alu instid0(VALU_DEP_1) | instskip(NEXT) | instid1(VALU_DEP_1)
	v_cndmask_b32_e64 v21, 0, v21, s0
	v_add_nc_u32_e32 v15, v15, v21
	ds_store_b32 v16, v15 offset:8160
.LBB15_28:
	s_or_b32 exec_lo, exec_lo, s9
	v_lshl_add_u32 v15, v4, 2, 0x1fdc
	v_cmp_lt_u32_e64 s9, 31, v0
	v_dual_mov_b32 v4, 0 :: v_dual_mov_b32 v21, 0
	s_waitcnt lgkmcnt(0)
	s_barrier
	buffer_gl0_inv
	s_and_saveexec_b32 s11, s9
	s_cbranch_execz .LBB15_30
; %bb.29:
	ds_load_b32 v21, v15
.LBB15_30:
	s_or_b32 exec_lo, exec_lo, s11
	v_add_nc_u32_e32 v22, -1, v14
	s_waitcnt lgkmcnt(0)
	v_add_nc_u32_e32 v23, v21, v18
	s_delay_alu instid0(VALU_DEP_2) | instskip(NEXT) | instid1(VALU_DEP_1)
	v_cmp_gt_i32_e64 s11, 0, v22
	v_cndmask_b32_e64 v22, v22, v14, s11
	v_cmp_eq_u32_e64 s11, 0, v14
	s_delay_alu instid0(VALU_DEP_2)
	v_lshlrev_b32_e32 v18, 2, v22
	ds_bpermute_b32 v22, v18, v23
	ds_load_b32 v23, v4 offset:8188
	s_waitcnt lgkmcnt(1)
	v_cndmask_b32_e64 v14, v22, v21, s11
	s_waitcnt lgkmcnt(0)
	s_delay_alu instid0(VALU_DEP_1) | instskip(NEXT) | instid1(VALU_DEP_1)
	v_lshl_add_u32 v21, v23, 16, v14
	v_add_nc_u32_e32 v22, v21, v5
	s_delay_alu instid0(VALU_DEP_1) | instskip(NEXT) | instid1(VALU_DEP_1)
	v_add_nc_u32_e32 v5, v22, v6
	v_add_nc_u32_e32 v6, v5, v7
	s_delay_alu instid0(VALU_DEP_1) | instskip(NEXT) | instid1(VALU_DEP_1)
	v_add_nc_u32_e32 v7, v6, v8
	;; [unrolled: 3-line block ×3, first 2 shown]
	v_add_nc_u32_e32 v2, v1, v3
	ds_store_2addr_b64 v11, v[21:22], v[5:6] offset1:1
	ds_store_2addr_b64 v11, v[7:8], v[1:2] offset0:2 offset1:3
	s_waitcnt lgkmcnt(0)
	s_barrier
	buffer_gl0_inv
	ds_load_u16 v1, v19
	v_and_b32_e32 v2, 0xffff, v20
	s_waitcnt lgkmcnt(0)
	s_barrier
	buffer_gl0_inv
	v_add_nc_u32_e32 v1, v1, v2
	ds_store_b8 v1, v13
	s_waitcnt lgkmcnt(0)
	s_barrier
	buffer_gl0_inv
	ds_load_u8 v13, v0
	v_add_nc_u32_e32 v1, 0x7f8, v12
	s_waitcnt lgkmcnt(0)
	s_barrier
	buffer_gl0_inv
	ds_store_2addr_b32 v12, v4, v4 offset1:255
	ds_store_2addr_b32 v1, v4, v4 offset1:255
	s_and_saveexec_b32 s12, vcc_lo
	s_cbranch_execz .LBB15_35
; %bb.31:
	v_mov_b32_e32 v1, 0
	v_cmp_gt_u32_e32 vcc_lo, 0x2fd, v0
	ds_store_b32 v12, v1 offset:4080
	s_and_b32 exec_lo, exec_lo, vcc_lo
	s_cbranch_execz .LBB15_35
; %bb.32:
	v_cmp_gt_u32_e32 vcc_lo, 0x1fe, v0
	ds_store_b32 v12, v1 offset:5100
	s_and_b32 exec_lo, exec_lo, vcc_lo
	s_cbranch_execz .LBB15_35
; %bb.33:
	v_mov_b32_e32 v1, 0
	v_cmp_gt_u32_e32 vcc_lo, 0xff, v0
	ds_store_b32 v12, v1 offset:6120
	s_and_b32 exec_lo, exec_lo, vcc_lo
	s_cbranch_execz .LBB15_35
; %bb.34:
	ds_store_b32 v12, v1 offset:7140
.LBB15_35:
	s_or_b32 exec_lo, exec_lo, s12
	v_lshrrev_b16 v1, 4, v13
	s_delay_alu instid0(VALU_DEP_1) | instskip(NEXT) | instid1(VALU_DEP_1)
	v_and_b32_e32 v1, 15, v1
	v_and_b32_e32 v1, 0xffff, v1
	s_delay_alu instid0(VALU_DEP_1) | instskip(SKIP_1) | instid1(VALU_DEP_2)
	v_and_b32_e32 v2, 7, v1
	v_lshrrev_b32_e32 v1, 2, v1
	v_mad_u32_u24 v2, 0xff, v2, v0
	s_delay_alu instid0(VALU_DEP_2) | instskip(NEXT) | instid1(VALU_DEP_1)
	v_and_b32_e32 v1, 2, v1
	v_lshl_or_b32 v12, v2, 2, v1
	ds_load_u16 v14, v12
	s_waitcnt lgkmcnt(0)
	v_add_nc_u16 v1, v14, 1
	ds_store_b16 v12, v1
	s_waitcnt lgkmcnt(0)
	s_barrier
	buffer_gl0_inv
	ds_load_2addr_b64 v[5:8], v11 offset1:1
	ds_load_2addr_b64 v[1:4], v11 offset0:2 offset1:3
	s_waitcnt lgkmcnt(1)
	v_add_nc_u32_e32 v19, v6, v5
	s_delay_alu instid0(VALU_DEP_1) | instskip(SKIP_1) | instid1(VALU_DEP_1)
	v_add3_u32 v19, v19, v7, v8
	s_waitcnt lgkmcnt(0)
	v_add3_u32 v19, v19, v1, v2
	s_delay_alu instid0(VALU_DEP_1) | instskip(NEXT) | instid1(VALU_DEP_1)
	v_add3_u32 v4, v19, v3, v4
	v_mov_b32_dpp v19, v4 row_shr:1 row_mask:0xf bank_mask:0xf
	s_delay_alu instid0(VALU_DEP_1) | instskip(NEXT) | instid1(VALU_DEP_1)
	v_cndmask_b32_e64 v19, v19, 0, s1
	v_add_nc_u32_e32 v4, v19, v4
	s_delay_alu instid0(VALU_DEP_1) | instskip(NEXT) | instid1(VALU_DEP_1)
	v_mov_b32_dpp v19, v4 row_shr:2 row_mask:0xf bank_mask:0xf
	v_cndmask_b32_e64 v19, 0, v19, s3
	s_delay_alu instid0(VALU_DEP_1) | instskip(NEXT) | instid1(VALU_DEP_1)
	v_add_nc_u32_e32 v4, v4, v19
	v_mov_b32_dpp v19, v4 row_shr:4 row_mask:0xf bank_mask:0xf
	s_delay_alu instid0(VALU_DEP_1) | instskip(NEXT) | instid1(VALU_DEP_1)
	v_cndmask_b32_e64 v19, 0, v19, s4
	v_add_nc_u32_e32 v4, v4, v19
	s_delay_alu instid0(VALU_DEP_1) | instskip(NEXT) | instid1(VALU_DEP_1)
	v_mov_b32_dpp v19, v4 row_shr:8 row_mask:0xf bank_mask:0xf
	v_cndmask_b32_e64 v19, 0, v19, s5
	s_delay_alu instid0(VALU_DEP_1) | instskip(SKIP_3) | instid1(VALU_DEP_1)
	v_add_nc_u32_e32 v4, v4, v19
	ds_swizzle_b32 v19, v4 offset:swizzle(BROADCAST,32,15)
	s_waitcnt lgkmcnt(0)
	v_cndmask_b32_e64 v19, v19, 0, s10
	v_add_nc_u32_e32 v4, v4, v19
	s_and_saveexec_b32 s1, s7
	s_cbranch_execz .LBB15_37
; %bb.36:
	ds_store_b32 v17, v4 offset:8160
.LBB15_37:
	s_or_b32 exec_lo, exec_lo, s1
	s_waitcnt lgkmcnt(0)
	s_barrier
	buffer_gl0_inv
	s_and_saveexec_b32 s1, s8
	s_cbranch_execz .LBB15_39
; %bb.38:
	ds_load_b32 v17, v16 offset:8160
	s_waitcnt lgkmcnt(0)
	v_mov_b32_dpp v19, v17 row_shr:1 row_mask:0xf bank_mask:0xf
	s_delay_alu instid0(VALU_DEP_1) | instskip(NEXT) | instid1(VALU_DEP_1)
	v_cndmask_b32_e64 v19, v19, 0, s6
	v_add_nc_u32_e32 v17, v19, v17
	s_delay_alu instid0(VALU_DEP_1) | instskip(NEXT) | instid1(VALU_DEP_1)
	v_mov_b32_dpp v19, v17 row_shr:2 row_mask:0xf bank_mask:0xf
	v_cndmask_b32_e64 v19, 0, v19, s2
	s_delay_alu instid0(VALU_DEP_1) | instskip(NEXT) | instid1(VALU_DEP_1)
	v_add_nc_u32_e32 v17, v17, v19
	v_mov_b32_dpp v19, v17 row_shr:4 row_mask:0xf bank_mask:0xf
	s_delay_alu instid0(VALU_DEP_1) | instskip(NEXT) | instid1(VALU_DEP_1)
	v_cndmask_b32_e64 v19, 0, v19, s0
	v_add_nc_u32_e32 v17, v17, v19
	ds_store_b32 v16, v17 offset:8160
.LBB15_39:
	s_or_b32 exec_lo, exec_lo, s1
	v_dual_mov_b32 v16, 0 :: v_dual_mov_b32 v17, 0
	s_waitcnt lgkmcnt(0)
	s_barrier
	buffer_gl0_inv
	s_and_saveexec_b32 s0, s9
	s_cbranch_execz .LBB15_41
; %bb.40:
	ds_load_b32 v17, v15
.LBB15_41:
	s_or_b32 exec_lo, exec_lo, s0
	s_waitcnt lgkmcnt(0)
	v_add_nc_u32_e32 v4, v17, v4
	ds_load_b32 v15, v16 offset:8188
	ds_bpermute_b32 v4, v18, v4
	s_waitcnt lgkmcnt(0)
	v_cndmask_b32_e64 v4, v4, v17, s11
	s_delay_alu instid0(VALU_DEP_1) | instskip(NEXT) | instid1(VALU_DEP_1)
	v_lshl_add_u32 v4, v15, 16, v4
	v_add_nc_u32_e32 v5, v4, v5
	s_delay_alu instid0(VALU_DEP_1) | instskip(NEXT) | instid1(VALU_DEP_1)
	v_add_nc_u32_e32 v6, v5, v6
	v_add_nc_u32_e32 v7, v6, v7
	s_delay_alu instid0(VALU_DEP_1) | instskip(NEXT) | instid1(VALU_DEP_1)
	v_add_nc_u32_e32 v15, v7, v8
	;; [unrolled: 3-line block ×3, first 2 shown]
	v_add_nc_u32_e32 v2, v1, v3
	ds_store_2addr_b64 v11, v[4:5], v[6:7] offset1:1
	ds_store_2addr_b64 v11, v[15:16], v[1:2] offset0:2 offset1:3
	s_waitcnt lgkmcnt(0)
	s_barrier
	buffer_gl0_inv
	ds_load_u16 v1, v12
	v_and_b32_e32 v2, 0xffff, v14
	s_waitcnt lgkmcnt(0)
	s_barrier
	buffer_gl0_inv
	v_add_nc_u32_e32 v1, v1, v2
	ds_store_b8 v1, v13
	s_waitcnt lgkmcnt(0)
	s_barrier
	buffer_gl0_inv
	ds_load_u8 v0, v0
	s_waitcnt lgkmcnt(0)
	global_store_b8 v[9:10], v0, off
	s_nop 0
	s_sendmsg sendmsg(MSG_DEALLOC_VGPRS)
	s_endpgm
	.section	.rodata,"a",@progbits
	.p2align	6, 0x0
	.amdhsa_kernel _Z15sort_key_kernelILj255ELj1ELb0ELb0EhEvPT3_jj
		.amdhsa_group_segment_fixed_size 8192
		.amdhsa_private_segment_fixed_size 0
		.amdhsa_kernarg_size 16
		.amdhsa_user_sgpr_count 15
		.amdhsa_user_sgpr_dispatch_ptr 0
		.amdhsa_user_sgpr_queue_ptr 0
		.amdhsa_user_sgpr_kernarg_segment_ptr 1
		.amdhsa_user_sgpr_dispatch_id 0
		.amdhsa_user_sgpr_private_segment_size 0
		.amdhsa_wavefront_size32 1
		.amdhsa_uses_dynamic_stack 0
		.amdhsa_enable_private_segment 0
		.amdhsa_system_sgpr_workgroup_id_x 1
		.amdhsa_system_sgpr_workgroup_id_y 0
		.amdhsa_system_sgpr_workgroup_id_z 0
		.amdhsa_system_sgpr_workgroup_info 0
		.amdhsa_system_vgpr_workitem_id 0
		.amdhsa_next_free_vgpr 24
		.amdhsa_next_free_sgpr 22
		.amdhsa_reserve_vcc 1
		.amdhsa_float_round_mode_32 0
		.amdhsa_float_round_mode_16_64 0
		.amdhsa_float_denorm_mode_32 3
		.amdhsa_float_denorm_mode_16_64 3
		.amdhsa_dx10_clamp 1
		.amdhsa_ieee_mode 1
		.amdhsa_fp16_overflow 0
		.amdhsa_workgroup_processor_mode 1
		.amdhsa_memory_ordered 1
		.amdhsa_forward_progress 0
		.amdhsa_shared_vgpr_count 0
		.amdhsa_exception_fp_ieee_invalid_op 0
		.amdhsa_exception_fp_denorm_src 0
		.amdhsa_exception_fp_ieee_div_zero 0
		.amdhsa_exception_fp_ieee_overflow 0
		.amdhsa_exception_fp_ieee_underflow 0
		.amdhsa_exception_fp_ieee_inexact 0
		.amdhsa_exception_int_div_zero 0
	.end_amdhsa_kernel
	.section	.text._Z15sort_key_kernelILj255ELj1ELb0ELb0EhEvPT3_jj,"axG",@progbits,_Z15sort_key_kernelILj255ELj1ELb0ELb0EhEvPT3_jj,comdat
.Lfunc_end15:
	.size	_Z15sort_key_kernelILj255ELj1ELb0ELb0EhEvPT3_jj, .Lfunc_end15-_Z15sort_key_kernelILj255ELj1ELb0ELb0EhEvPT3_jj
                                        ; -- End function
	.section	.AMDGPU.csdata,"",@progbits
; Kernel info:
; codeLenInByte = 3104
; NumSgprs: 24
; NumVgprs: 24
; ScratchSize: 0
; MemoryBound: 0
; FloatMode: 240
; IeeeMode: 1
; LDSByteSize: 8192 bytes/workgroup (compile time only)
; SGPRBlocks: 2
; VGPRBlocks: 2
; NumSGPRsForWavesPerEU: 24
; NumVGPRsForWavesPerEU: 24
; Occupancy: 16
; WaveLimiterHint : 0
; COMPUTE_PGM_RSRC2:SCRATCH_EN: 0
; COMPUTE_PGM_RSRC2:USER_SGPR: 15
; COMPUTE_PGM_RSRC2:TRAP_HANDLER: 0
; COMPUTE_PGM_RSRC2:TGID_X_EN: 1
; COMPUTE_PGM_RSRC2:TGID_Y_EN: 0
; COMPUTE_PGM_RSRC2:TGID_Z_EN: 0
; COMPUTE_PGM_RSRC2:TIDIG_COMP_CNT: 0
	.section	.text._Z15sort_key_kernelILj162ELj1ELb1ELb0EjEvPT3_jj,"axG",@progbits,_Z15sort_key_kernelILj162ELj1ELb1ELb0EjEvPT3_jj,comdat
	.protected	_Z15sort_key_kernelILj162ELj1ELb1ELb0EjEvPT3_jj ; -- Begin function _Z15sort_key_kernelILj162ELj1ELb1ELb0EjEvPT3_jj
	.globl	_Z15sort_key_kernelILj162ELj1ELb1ELb0EjEvPT3_jj
	.p2align	8
	.type	_Z15sort_key_kernelILj162ELj1ELb1ELb0EjEvPT3_jj,@function
_Z15sort_key_kernelILj162ELj1ELb1ELb0EjEvPT3_jj: ; @_Z15sort_key_kernelILj162ELj1ELb1ELb0EjEvPT3_jj
; %bb.0:
	s_load_b128 s[16:19], s[0:1], 0x0
	v_mbcnt_lo_u32_b32 v1, -1, 0
	s_mul_i32 s0, s15, 0xa2
	s_mov_b32 s1, 0
	v_and_b32_e32 v3, 0xe0, v0
	s_lshl_b64 s[0:1], s[0:1], 2
	v_add_nc_u32_e32 v5, -1, v1
	v_and_b32_e32 v2, 15, v1
	v_and_b32_e32 v4, 16, v1
	v_min_u32_e32 v3, 0x82, v3
	v_lshlrev_b32_e32 v11, 5, v0
	v_cmp_gt_i32_e32 vcc_lo, 0, v5
	v_lshlrev_b32_e32 v15, 2, v0
	v_cmp_eq_u32_e64 s9, 0, v2
	v_cmp_lt_u32_e64 s7, 1, v2
	v_cmp_lt_u32_e64 s11, 3, v2
	;; [unrolled: 1-line block ×3, first 2 shown]
	v_dual_cndmask_b32 v2, v5, v1 :: v_dual_add_nc_u32 v3, 31, v3
	v_cmp_eq_u32_e64 s8, 0, v4
	s_waitcnt lgkmcnt(0)
	s_add_u32 s0, s16, s0
	s_addc_u32 s1, s17, s1
	s_cmp_eq_u32 s18, 0
	global_load_b32 v16, v15, s[0:1]
	v_add_co_u32 v9, s0, s0, v15
	s_cselect_b32 s2, -1, 0
	s_cmp_eq_u32 s19, 32
	v_add_co_ci_u32_e64 v10, null, s1, 0, s0
	v_cmp_eq_u32_e64 s6, v3, v0
	v_lshrrev_b32_e32 v3, 3, v0
	v_and_b32_e32 v4, 7, v1
	v_cmp_eq_u32_e64 s0, 0, v1
	v_mul_i32_i24_e32 v1, 0xffffffe4, v0
	s_cselect_b32 s3, -1, 0
	v_cmp_lt_u32_e64 s1, 31, v0
	s_and_b32 s12, s2, s3
	v_cmp_gt_u32_e64 s2, 6, v0
	v_lshlrev_b32_e32 v13, 2, v2
	v_and_b32_e32 v14, 28, v3
	v_cmp_eq_u32_e64 s5, 0, v4
	v_cmp_lt_u32_e64 s4, 1, v4
	v_cmp_lt_u32_e64 s3, 3, v4
	s_and_b32 vcc_lo, exec_lo, s12
	v_add_nc_u32_e32 v12, v11, v1
	v_cmp_gt_u32_e64 s12, 0x3cc, v0
	v_cmp_gt_u32_e64 s13, 0x32a, v0
	s_mov_b32 s14, -1
	s_cbranch_vccz .LBB16_3
; %bb.1:
	s_and_b32 vcc_lo, exec_lo, s14
	s_cbranch_vccnz .LBB16_21
.LBB16_2:
	s_waitcnt vmcnt(0)
	buffer_gl0_inv
	ds_load_b32 v0, v12
	s_waitcnt lgkmcnt(0)
	global_store_b32 v[9:10], v0, off
	s_nop 0
	s_sendmsg sendmsg(MSG_DEALLOC_VGPRS)
	s_endpgm
.LBB16_3:
	v_cmp_gt_u32_e64 s14, 0x288, v0
	v_cmp_gt_u32_e64 s15, 0x1e6, v0
	;; [unrolled: 1-line block ×4, first 2 shown]
	s_waitcnt vmcnt(0)
	v_dual_mov_b32 v17, 0 :: v_dual_mov_b32 v2, v16
	s_sub_i32 s20, s19, s18
	s_branch .LBB16_5
.LBB16_4:                               ;   in Loop: Header=BB16_5 Depth=1
	s_barrier
	buffer_gl0_inv
	ds_store_b32 v1, v18
	s_waitcnt lgkmcnt(0)
	s_barrier
	buffer_gl0_inv
	ds_load_b32 v2, v12
	s_add_i32 s20, s20, -4
	s_waitcnt lgkmcnt(0)
	s_barrier
	buffer_gl0_inv
	s_cbranch_execz .LBB16_20
.LBB16_5:                               ; =>This Inner Loop Header: Depth=1
	s_delay_alu instid0(VALU_DEP_1)
	v_mov_b32_e32 v18, v2
	ds_store_2addr_b32 v15, v17, v17 offset1:162
	s_and_saveexec_b32 s21, s12
	s_cbranch_execz .LBB16_12
; %bb.6:                                ;   in Loop: Header=BB16_5 Depth=1
	ds_store_b32 v15, v17 offset:1296
	s_and_b32 exec_lo, exec_lo, s13
	s_cbranch_execz .LBB16_12
; %bb.7:                                ;   in Loop: Header=BB16_5 Depth=1
	ds_store_b32 v15, v17 offset:1944
	s_and_b32 exec_lo, exec_lo, s14
	;; [unrolled: 4-line block ×4, first 2 shown]
	s_cbranch_execz .LBB16_12
; %bb.10:                               ;   in Loop: Header=BB16_5 Depth=1
	ds_store_b32 v15, v17 offset:3888
	s_and_b32 exec_lo, exec_lo, s17
	s_cbranch_execz .LBB16_12
; %bb.11:                               ;   in Loop: Header=BB16_5 Depth=1
	ds_store_b32 v15, v17 offset:4536
.LBB16_12:                              ;   in Loop: Header=BB16_5 Depth=1
	s_or_b32 exec_lo, exec_lo, s21
	v_lshrrev_b32_e32 v1, s18, v18
	s_min_u32 s21, s20, 4
	s_delay_alu instid0(VALU_DEP_1) | instid1(SALU_CYCLE_1)
	v_bfe_u32 v1, v1, 0, s21
	s_delay_alu instid0(VALU_DEP_1) | instskip(SKIP_1) | instid1(VALU_DEP_2)
	v_and_b32_e32 v2, 7, v1
	v_lshrrev_b32_e32 v1, 3, v1
	v_mul_u32_u24_e32 v2, 0xa2, v2
	s_delay_alu instid0(VALU_DEP_1) | instskip(NEXT) | instid1(VALU_DEP_1)
	v_add_lshl_u32 v2, v2, v0, 1
	v_add_lshl_u32 v19, v2, v1, 1
	ds_load_u16 v20, v19
	s_waitcnt lgkmcnt(0)
	v_add_nc_u16 v1, v20, 1
	ds_store_b16 v19, v1
	s_waitcnt lgkmcnt(0)
	s_barrier
	buffer_gl0_inv
	ds_load_2addr_b64 v[5:8], v11 offset1:1
	ds_load_2addr_b64 v[1:4], v11 offset0:2 offset1:3
	s_waitcnt lgkmcnt(1)
	v_add_nc_u32_e32 v21, v6, v5
	s_delay_alu instid0(VALU_DEP_1) | instskip(SKIP_1) | instid1(VALU_DEP_1)
	v_add3_u32 v21, v21, v7, v8
	s_waitcnt lgkmcnt(0)
	v_add3_u32 v21, v21, v1, v2
	s_delay_alu instid0(VALU_DEP_1) | instskip(NEXT) | instid1(VALU_DEP_1)
	v_add3_u32 v4, v21, v3, v4
	v_mov_b32_dpp v21, v4 row_shr:1 row_mask:0xf bank_mask:0xf
	s_delay_alu instid0(VALU_DEP_1) | instskip(NEXT) | instid1(VALU_DEP_1)
	v_cndmask_b32_e64 v21, v21, 0, s9
	v_add_nc_u32_e32 v4, v21, v4
	s_delay_alu instid0(VALU_DEP_1) | instskip(NEXT) | instid1(VALU_DEP_1)
	v_mov_b32_dpp v21, v4 row_shr:2 row_mask:0xf bank_mask:0xf
	v_cndmask_b32_e64 v21, 0, v21, s7
	s_delay_alu instid0(VALU_DEP_1) | instskip(NEXT) | instid1(VALU_DEP_1)
	v_add_nc_u32_e32 v4, v4, v21
	v_mov_b32_dpp v21, v4 row_shr:4 row_mask:0xf bank_mask:0xf
	s_delay_alu instid0(VALU_DEP_1) | instskip(NEXT) | instid1(VALU_DEP_1)
	v_cndmask_b32_e64 v21, 0, v21, s11
	v_add_nc_u32_e32 v4, v4, v21
	s_delay_alu instid0(VALU_DEP_1) | instskip(NEXT) | instid1(VALU_DEP_1)
	v_mov_b32_dpp v21, v4 row_shr:8 row_mask:0xf bank_mask:0xf
	v_cndmask_b32_e64 v21, 0, v21, s10
	s_delay_alu instid0(VALU_DEP_1) | instskip(SKIP_3) | instid1(VALU_DEP_1)
	v_add_nc_u32_e32 v4, v4, v21
	ds_swizzle_b32 v21, v4 offset:swizzle(BROADCAST,32,15)
	s_waitcnt lgkmcnt(0)
	v_cndmask_b32_e64 v21, v21, 0, s8
	v_add_nc_u32_e32 v4, v4, v21
	s_and_saveexec_b32 s21, s6
	s_cbranch_execz .LBB16_14
; %bb.13:                               ;   in Loop: Header=BB16_5 Depth=1
	ds_store_b32 v14, v4 offset:5184
.LBB16_14:                              ;   in Loop: Header=BB16_5 Depth=1
	s_or_b32 exec_lo, exec_lo, s21
	s_waitcnt lgkmcnt(0)
	s_barrier
	buffer_gl0_inv
	s_and_saveexec_b32 s21, s2
	s_cbranch_execz .LBB16_16
; %bb.15:                               ;   in Loop: Header=BB16_5 Depth=1
	ds_load_b32 v21, v12 offset:5184
	s_waitcnt lgkmcnt(0)
	v_mov_b32_dpp v22, v21 row_shr:1 row_mask:0xf bank_mask:0xf
	s_delay_alu instid0(VALU_DEP_1) | instskip(NEXT) | instid1(VALU_DEP_1)
	v_cndmask_b32_e64 v22, v22, 0, s5
	v_add_nc_u32_e32 v21, v22, v21
	s_delay_alu instid0(VALU_DEP_1) | instskip(NEXT) | instid1(VALU_DEP_1)
	v_mov_b32_dpp v22, v21 row_shr:2 row_mask:0xf bank_mask:0xf
	v_cndmask_b32_e64 v22, 0, v22, s4
	s_delay_alu instid0(VALU_DEP_1) | instskip(NEXT) | instid1(VALU_DEP_1)
	v_add_nc_u32_e32 v21, v21, v22
	v_mov_b32_dpp v22, v21 row_shr:4 row_mask:0xf bank_mask:0xf
	s_delay_alu instid0(VALU_DEP_1) | instskip(NEXT) | instid1(VALU_DEP_1)
	v_cndmask_b32_e64 v22, 0, v22, s3
	v_add_nc_u32_e32 v21, v21, v22
	ds_store_b32 v12, v21 offset:5184
.LBB16_16:                              ;   in Loop: Header=BB16_5 Depth=1
	s_or_b32 exec_lo, exec_lo, s21
	v_mov_b32_e32 v21, 0
	s_waitcnt lgkmcnt(0)
	s_barrier
	buffer_gl0_inv
	s_and_saveexec_b32 s21, s1
	s_cbranch_execz .LBB16_18
; %bb.17:                               ;   in Loop: Header=BB16_5 Depth=1
	ds_load_b32 v21, v14 offset:5180
.LBB16_18:                              ;   in Loop: Header=BB16_5 Depth=1
	s_or_b32 exec_lo, exec_lo, s21
	s_waitcnt lgkmcnt(0)
	v_add_nc_u32_e32 v4, v21, v4
	ds_load_b32 v22, v17 offset:5204
	s_add_i32 s18, s18, 4
	s_delay_alu instid0(SALU_CYCLE_1) | instskip(SKIP_3) | instid1(VALU_DEP_1)
	s_cmp_ge_u32 s18, s19
	ds_bpermute_b32 v4, v13, v4
	s_waitcnt lgkmcnt(0)
	v_cndmask_b32_e64 v4, v4, v21, s0
	v_lshl_add_u32 v4, v22, 16, v4
	s_delay_alu instid0(VALU_DEP_1) | instskip(NEXT) | instid1(VALU_DEP_1)
	v_add_nc_u32_e32 v5, v4, v5
	v_add_nc_u32_e32 v6, v5, v6
	s_delay_alu instid0(VALU_DEP_1) | instskip(NEXT) | instid1(VALU_DEP_1)
	v_add_nc_u32_e32 v7, v6, v7
	v_add_nc_u32_e32 v21, v7, v8
	;; [unrolled: 3-line block ×3, first 2 shown]
	s_delay_alu instid0(VALU_DEP_1)
	v_add_nc_u32_e32 v2, v1, v3
	ds_store_2addr_b64 v11, v[4:5], v[6:7] offset1:1
	ds_store_2addr_b64 v11, v[21:22], v[1:2] offset0:2 offset1:3
	s_waitcnt lgkmcnt(0)
	s_barrier
	buffer_gl0_inv
	ds_load_u16 v1, v19
	v_and_b32_e32 v2, 0xffff, v20
	s_waitcnt lgkmcnt(0)
	s_delay_alu instid0(VALU_DEP_1) | instskip(NEXT) | instid1(VALU_DEP_1)
	v_lshlrev_b32_e32 v2, 2, v2
	v_lshl_add_u32 v1, v1, 2, v2
	s_cbranch_scc0 .LBB16_4
; %bb.19:
                                        ; implicit-def: $vgpr2
                                        ; implicit-def: $sgpr20
.LBB16_20:
	s_barrier
	buffer_gl0_inv
	ds_store_b32 v1, v18
	s_waitcnt lgkmcnt(0)
	s_barrier
	s_branch .LBB16_2
.LBB16_21:
	v_mov_b32_e32 v1, 0
	v_cmp_gt_u32_e32 vcc_lo, 0x3cc, v0
	ds_store_2addr_b32 v12, v1, v1 offset1:162
	s_and_saveexec_b32 s13, vcc_lo
	s_cbranch_execz .LBB16_28
; %bb.22:
	v_cmp_gt_u32_e64 s12, 0x32a, v0
	ds_store_b32 v12, v1 offset:1296
	s_and_b32 exec_lo, exec_lo, s12
	s_cbranch_execz .LBB16_28
; %bb.23:
	v_mov_b32_e32 v1, 0
	v_cmp_gt_u32_e64 s12, 0x288, v0
	ds_store_b32 v12, v1 offset:1944
	s_and_b32 exec_lo, exec_lo, s12
	s_cbranch_execz .LBB16_28
; %bb.24:
	v_cmp_gt_u32_e64 s12, 0x1e6, v0
	ds_store_b32 v12, v1 offset:2592
	s_and_b32 exec_lo, exec_lo, s12
	s_cbranch_execz .LBB16_28
; %bb.25:
	v_mov_b32_e32 v1, 0
	v_cmp_gt_u32_e64 s12, 0x144, v0
	ds_store_b32 v12, v1 offset:3240
	s_and_b32 exec_lo, exec_lo, s12
	s_cbranch_execz .LBB16_28
; %bb.26:
	v_cmp_gt_u32_e64 s12, 0xa2, v0
	ds_store_b32 v12, v1 offset:3888
	s_and_b32 exec_lo, exec_lo, s12
	s_cbranch_execz .LBB16_28
; %bb.27:
	v_mov_b32_e32 v1, 0
	ds_store_b32 v12, v1 offset:4536
.LBB16_28:
	s_or_b32 exec_lo, exec_lo, s13
	s_waitcnt vmcnt(0)
	v_and_b32_e32 v1, 7, v16
	v_lshrrev_b32_e32 v2, 2, v16
	s_delay_alu instid0(VALU_DEP_2) | instskip(NEXT) | instid1(VALU_DEP_2)
	v_mad_u32_u24 v1, 0xa2, v1, v0
	v_and_b32_e32 v2, 2, v2
	s_delay_alu instid0(VALU_DEP_1)
	v_lshl_or_b32 v17, v1, 2, v2
	ds_load_u16 v18, v17
	s_waitcnt lgkmcnt(0)
	v_add_nc_u16 v1, v18, 1
	ds_store_b16 v17, v1
	s_waitcnt lgkmcnt(0)
	s_barrier
	buffer_gl0_inv
	ds_load_2addr_b64 v[5:8], v11 offset1:1
	ds_load_2addr_b64 v[1:4], v11 offset0:2 offset1:3
	s_waitcnt lgkmcnt(1)
	v_add_nc_u32_e32 v19, v6, v5
	s_delay_alu instid0(VALU_DEP_1) | instskip(SKIP_1) | instid1(VALU_DEP_1)
	v_add3_u32 v19, v19, v7, v8
	s_waitcnt lgkmcnt(0)
	v_add3_u32 v19, v19, v1, v2
	s_delay_alu instid0(VALU_DEP_1) | instskip(NEXT) | instid1(VALU_DEP_1)
	v_add3_u32 v4, v19, v3, v4
	v_mov_b32_dpp v19, v4 row_shr:1 row_mask:0xf bank_mask:0xf
	s_delay_alu instid0(VALU_DEP_1) | instskip(NEXT) | instid1(VALU_DEP_1)
	v_cndmask_b32_e64 v19, v19, 0, s9
	v_add_nc_u32_e32 v4, v19, v4
	s_delay_alu instid0(VALU_DEP_1) | instskip(NEXT) | instid1(VALU_DEP_1)
	v_mov_b32_dpp v19, v4 row_shr:2 row_mask:0xf bank_mask:0xf
	v_cndmask_b32_e64 v19, 0, v19, s7
	s_delay_alu instid0(VALU_DEP_1) | instskip(NEXT) | instid1(VALU_DEP_1)
	v_add_nc_u32_e32 v4, v4, v19
	v_mov_b32_dpp v19, v4 row_shr:4 row_mask:0xf bank_mask:0xf
	s_delay_alu instid0(VALU_DEP_1) | instskip(NEXT) | instid1(VALU_DEP_1)
	v_cndmask_b32_e64 v19, 0, v19, s11
	v_add_nc_u32_e32 v4, v4, v19
	s_delay_alu instid0(VALU_DEP_1) | instskip(NEXT) | instid1(VALU_DEP_1)
	v_mov_b32_dpp v19, v4 row_shr:8 row_mask:0xf bank_mask:0xf
	v_cndmask_b32_e64 v19, 0, v19, s10
	s_delay_alu instid0(VALU_DEP_1) | instskip(SKIP_3) | instid1(VALU_DEP_1)
	v_add_nc_u32_e32 v4, v4, v19
	ds_swizzle_b32 v19, v4 offset:swizzle(BROADCAST,32,15)
	s_waitcnt lgkmcnt(0)
	v_cndmask_b32_e64 v19, v19, 0, s8
	v_add_nc_u32_e32 v19, v4, v19
	s_and_saveexec_b32 s12, s6
	s_cbranch_execz .LBB16_30
; %bb.29:
	ds_store_b32 v14, v19 offset:5184
.LBB16_30:
	s_or_b32 exec_lo, exec_lo, s12
	s_waitcnt lgkmcnt(0)
	s_barrier
	buffer_gl0_inv
	s_and_saveexec_b32 s12, s2
	s_cbranch_execz .LBB16_32
; %bb.31:
	ds_load_b32 v4, v12 offset:5184
	s_waitcnt lgkmcnt(0)
	v_mov_b32_dpp v20, v4 row_shr:1 row_mask:0xf bank_mask:0xf
	s_delay_alu instid0(VALU_DEP_1) | instskip(NEXT) | instid1(VALU_DEP_1)
	v_cndmask_b32_e64 v20, v20, 0, s5
	v_add_nc_u32_e32 v4, v20, v4
	s_delay_alu instid0(VALU_DEP_1) | instskip(NEXT) | instid1(VALU_DEP_1)
	v_mov_b32_dpp v20, v4 row_shr:2 row_mask:0xf bank_mask:0xf
	v_cndmask_b32_e64 v20, 0, v20, s4
	s_delay_alu instid0(VALU_DEP_1) | instskip(NEXT) | instid1(VALU_DEP_1)
	v_add_nc_u32_e32 v4, v4, v20
	v_mov_b32_dpp v20, v4 row_shr:4 row_mask:0xf bank_mask:0xf
	s_delay_alu instid0(VALU_DEP_1) | instskip(NEXT) | instid1(VALU_DEP_1)
	v_cndmask_b32_e64 v20, 0, v20, s3
	v_add_nc_u32_e32 v4, v4, v20
	ds_store_b32 v12, v4 offset:5184
.LBB16_32:
	s_or_b32 exec_lo, exec_lo, s12
	v_mov_b32_e32 v4, 0
	v_mov_b32_e32 v20, 0
	s_waitcnt lgkmcnt(0)
	s_barrier
	buffer_gl0_inv
	s_and_saveexec_b32 s12, s1
	s_cbranch_execz .LBB16_34
; %bb.33:
	ds_load_b32 v20, v14 offset:5180
.LBB16_34:
	s_or_b32 exec_lo, exec_lo, s12
	s_waitcnt lgkmcnt(0)
	v_add_nc_u32_e32 v19, v20, v19
	ds_load_b32 v21, v4 offset:5204
	ds_bpermute_b32 v19, v13, v19
	s_waitcnt lgkmcnt(0)
	v_cndmask_b32_e64 v19, v19, v20, s0
	s_delay_alu instid0(VALU_DEP_1) | instskip(NEXT) | instid1(VALU_DEP_1)
	v_lshl_add_u32 v19, v21, 16, v19
	v_add_nc_u32_e32 v20, v19, v5
	s_delay_alu instid0(VALU_DEP_1) | instskip(NEXT) | instid1(VALU_DEP_1)
	v_add_nc_u32_e32 v5, v20, v6
	v_add_nc_u32_e32 v6, v5, v7
	s_delay_alu instid0(VALU_DEP_1) | instskip(NEXT) | instid1(VALU_DEP_1)
	v_add_nc_u32_e32 v7, v6, v8
	;; [unrolled: 3-line block ×3, first 2 shown]
	v_add_nc_u32_e32 v2, v1, v3
	ds_store_2addr_b64 v11, v[19:20], v[5:6] offset1:1
	ds_store_2addr_b64 v11, v[7:8], v[1:2] offset0:2 offset1:3
	s_waitcnt lgkmcnt(0)
	s_barrier
	buffer_gl0_inv
	ds_load_u16 v1, v17
	v_and_b32_e32 v2, 0xffff, v18
	s_waitcnt lgkmcnt(0)
	s_barrier
	buffer_gl0_inv
	v_lshlrev_b32_e32 v2, 2, v2
	s_delay_alu instid0(VALU_DEP_1)
	v_lshl_add_u32 v1, v1, 2, v2
	ds_store_b32 v1, v16
	s_waitcnt lgkmcnt(0)
	s_barrier
	buffer_gl0_inv
	ds_load_b32 v16, v12
	s_waitcnt lgkmcnt(0)
	s_barrier
	buffer_gl0_inv
	ds_store_2addr_b32 v15, v4, v4 offset1:162
	s_and_saveexec_b32 s13, vcc_lo
	s_cbranch_execz .LBB16_41
; %bb.35:
	v_mov_b32_e32 v1, 0
	v_cmp_gt_u32_e64 s12, 0x32a, v0
	ds_store_b32 v15, v1 offset:1296
	s_and_b32 exec_lo, exec_lo, s12
	s_cbranch_execz .LBB16_41
; %bb.36:
	v_cmp_gt_u32_e64 s12, 0x288, v0
	ds_store_b32 v15, v1 offset:1944
	s_and_b32 exec_lo, exec_lo, s12
	s_cbranch_execz .LBB16_41
; %bb.37:
	v_mov_b32_e32 v1, 0
	v_cmp_gt_u32_e64 s12, 0x1e6, v0
	ds_store_b32 v15, v1 offset:2592
	s_and_b32 exec_lo, exec_lo, s12
	s_cbranch_execz .LBB16_41
; %bb.38:
	v_cmp_gt_u32_e64 s12, 0x144, v0
	ds_store_b32 v15, v1 offset:3240
	s_and_b32 exec_lo, exec_lo, s12
	s_cbranch_execz .LBB16_41
; %bb.39:
	v_mov_b32_e32 v1, 0
	v_cmp_gt_u32_e64 s12, 0xa2, v0
	ds_store_b32 v15, v1 offset:3888
	s_and_b32 exec_lo, exec_lo, s12
	s_cbranch_execz .LBB16_41
; %bb.40:
	ds_store_b32 v15, v1 offset:4536
.LBB16_41:
	s_or_b32 exec_lo, exec_lo, s13
	v_bfe_u32 v1, v16, 4, 3
	v_lshrrev_b32_e32 v2, 6, v16
	s_delay_alu instid0(VALU_DEP_2) | instskip(NEXT) | instid1(VALU_DEP_2)
	v_mad_u32_u24 v1, 0xa2, v1, v0
	v_and_b32_e32 v2, 2, v2
	s_delay_alu instid0(VALU_DEP_1)
	v_lshl_or_b32 v17, v1, 2, v2
	ds_load_u16 v18, v17
	s_waitcnt lgkmcnt(0)
	v_add_nc_u16 v1, v18, 1
	ds_store_b16 v17, v1
	s_waitcnt lgkmcnt(0)
	s_barrier
	buffer_gl0_inv
	ds_load_2addr_b64 v[5:8], v11 offset1:1
	ds_load_2addr_b64 v[1:4], v11 offset0:2 offset1:3
	s_waitcnt lgkmcnt(1)
	v_add_nc_u32_e32 v19, v6, v5
	s_delay_alu instid0(VALU_DEP_1) | instskip(SKIP_1) | instid1(VALU_DEP_1)
	v_add3_u32 v19, v19, v7, v8
	s_waitcnt lgkmcnt(0)
	v_add3_u32 v19, v19, v1, v2
	s_delay_alu instid0(VALU_DEP_1) | instskip(NEXT) | instid1(VALU_DEP_1)
	v_add3_u32 v4, v19, v3, v4
	v_mov_b32_dpp v19, v4 row_shr:1 row_mask:0xf bank_mask:0xf
	s_delay_alu instid0(VALU_DEP_1) | instskip(NEXT) | instid1(VALU_DEP_1)
	v_cndmask_b32_e64 v19, v19, 0, s9
	v_add_nc_u32_e32 v4, v19, v4
	s_delay_alu instid0(VALU_DEP_1) | instskip(NEXT) | instid1(VALU_DEP_1)
	v_mov_b32_dpp v19, v4 row_shr:2 row_mask:0xf bank_mask:0xf
	v_cndmask_b32_e64 v19, 0, v19, s7
	s_delay_alu instid0(VALU_DEP_1) | instskip(NEXT) | instid1(VALU_DEP_1)
	v_add_nc_u32_e32 v4, v4, v19
	v_mov_b32_dpp v19, v4 row_shr:4 row_mask:0xf bank_mask:0xf
	s_delay_alu instid0(VALU_DEP_1) | instskip(NEXT) | instid1(VALU_DEP_1)
	v_cndmask_b32_e64 v19, 0, v19, s11
	v_add_nc_u32_e32 v4, v4, v19
	s_delay_alu instid0(VALU_DEP_1) | instskip(NEXT) | instid1(VALU_DEP_1)
	v_mov_b32_dpp v19, v4 row_shr:8 row_mask:0xf bank_mask:0xf
	v_cndmask_b32_e64 v19, 0, v19, s10
	s_delay_alu instid0(VALU_DEP_1) | instskip(SKIP_3) | instid1(VALU_DEP_1)
	v_add_nc_u32_e32 v4, v4, v19
	ds_swizzle_b32 v19, v4 offset:swizzle(BROADCAST,32,15)
	s_waitcnt lgkmcnt(0)
	v_cndmask_b32_e64 v19, v19, 0, s8
	v_add_nc_u32_e32 v19, v4, v19
	s_and_saveexec_b32 s12, s6
	s_cbranch_execz .LBB16_43
; %bb.42:
	ds_store_b32 v14, v19 offset:5184
.LBB16_43:
	s_or_b32 exec_lo, exec_lo, s12
	s_waitcnt lgkmcnt(0)
	s_barrier
	buffer_gl0_inv
	s_and_saveexec_b32 s12, s2
	s_cbranch_execz .LBB16_45
; %bb.44:
	ds_load_b32 v4, v12 offset:5184
	s_waitcnt lgkmcnt(0)
	v_mov_b32_dpp v20, v4 row_shr:1 row_mask:0xf bank_mask:0xf
	s_delay_alu instid0(VALU_DEP_1) | instskip(NEXT) | instid1(VALU_DEP_1)
	v_cndmask_b32_e64 v20, v20, 0, s5
	v_add_nc_u32_e32 v4, v20, v4
	s_delay_alu instid0(VALU_DEP_1) | instskip(NEXT) | instid1(VALU_DEP_1)
	v_mov_b32_dpp v20, v4 row_shr:2 row_mask:0xf bank_mask:0xf
	v_cndmask_b32_e64 v20, 0, v20, s4
	s_delay_alu instid0(VALU_DEP_1) | instskip(NEXT) | instid1(VALU_DEP_1)
	v_add_nc_u32_e32 v4, v4, v20
	v_mov_b32_dpp v20, v4 row_shr:4 row_mask:0xf bank_mask:0xf
	s_delay_alu instid0(VALU_DEP_1) | instskip(NEXT) | instid1(VALU_DEP_1)
	v_cndmask_b32_e64 v20, 0, v20, s3
	v_add_nc_u32_e32 v4, v4, v20
	ds_store_b32 v12, v4 offset:5184
.LBB16_45:
	s_or_b32 exec_lo, exec_lo, s12
	v_mov_b32_e32 v4, 0
	v_mov_b32_e32 v20, 0
	s_waitcnt lgkmcnt(0)
	s_barrier
	buffer_gl0_inv
	s_and_saveexec_b32 s12, s1
	s_cbranch_execz .LBB16_47
; %bb.46:
	ds_load_b32 v20, v14 offset:5180
.LBB16_47:
	s_or_b32 exec_lo, exec_lo, s12
	s_waitcnt lgkmcnt(0)
	v_add_nc_u32_e32 v19, v20, v19
	ds_load_b32 v21, v4 offset:5204
	ds_bpermute_b32 v19, v13, v19
	s_waitcnt lgkmcnt(0)
	v_cndmask_b32_e64 v19, v19, v20, s0
	s_delay_alu instid0(VALU_DEP_1) | instskip(NEXT) | instid1(VALU_DEP_1)
	v_lshl_add_u32 v19, v21, 16, v19
	v_add_nc_u32_e32 v20, v19, v5
	s_delay_alu instid0(VALU_DEP_1) | instskip(NEXT) | instid1(VALU_DEP_1)
	v_add_nc_u32_e32 v5, v20, v6
	v_add_nc_u32_e32 v6, v5, v7
	s_delay_alu instid0(VALU_DEP_1) | instskip(NEXT) | instid1(VALU_DEP_1)
	v_add_nc_u32_e32 v7, v6, v8
	;; [unrolled: 3-line block ×3, first 2 shown]
	v_add_nc_u32_e32 v2, v1, v3
	ds_store_2addr_b64 v11, v[19:20], v[5:6] offset1:1
	ds_store_2addr_b64 v11, v[7:8], v[1:2] offset0:2 offset1:3
	s_waitcnt lgkmcnt(0)
	s_barrier
	buffer_gl0_inv
	ds_load_u16 v1, v17
	v_and_b32_e32 v2, 0xffff, v18
	s_waitcnt lgkmcnt(0)
	s_barrier
	buffer_gl0_inv
	v_lshlrev_b32_e32 v2, 2, v2
	s_delay_alu instid0(VALU_DEP_1)
	v_lshl_add_u32 v1, v1, 2, v2
	ds_store_b32 v1, v16
	s_waitcnt lgkmcnt(0)
	s_barrier
	buffer_gl0_inv
	ds_load_b32 v16, v12
	s_waitcnt lgkmcnt(0)
	s_barrier
	buffer_gl0_inv
	ds_store_2addr_b32 v15, v4, v4 offset1:162
	s_and_saveexec_b32 s13, vcc_lo
	s_cbranch_execz .LBB16_54
; %bb.48:
	v_mov_b32_e32 v1, 0
	v_cmp_gt_u32_e64 s12, 0x32a, v0
	ds_store_b32 v15, v1 offset:1296
	s_and_b32 exec_lo, exec_lo, s12
	s_cbranch_execz .LBB16_54
; %bb.49:
	v_cmp_gt_u32_e64 s12, 0x288, v0
	ds_store_b32 v15, v1 offset:1944
	s_and_b32 exec_lo, exec_lo, s12
	s_cbranch_execz .LBB16_54
; %bb.50:
	v_mov_b32_e32 v1, 0
	v_cmp_gt_u32_e64 s12, 0x1e6, v0
	ds_store_b32 v15, v1 offset:2592
	s_and_b32 exec_lo, exec_lo, s12
	s_cbranch_execz .LBB16_54
; %bb.51:
	v_cmp_gt_u32_e64 s12, 0x144, v0
	ds_store_b32 v15, v1 offset:3240
	s_and_b32 exec_lo, exec_lo, s12
	s_cbranch_execz .LBB16_54
; %bb.52:
	v_mov_b32_e32 v1, 0
	v_cmp_gt_u32_e64 s12, 0xa2, v0
	ds_store_b32 v15, v1 offset:3888
	s_and_b32 exec_lo, exec_lo, s12
	s_cbranch_execz .LBB16_54
; %bb.53:
	ds_store_b32 v15, v1 offset:4536
.LBB16_54:
	s_or_b32 exec_lo, exec_lo, s13
	v_bfe_u32 v1, v16, 8, 3
	v_lshrrev_b32_e32 v2, 10, v16
	s_delay_alu instid0(VALU_DEP_2) | instskip(NEXT) | instid1(VALU_DEP_2)
	v_mad_u32_u24 v1, 0xa2, v1, v0
	v_and_b32_e32 v2, 2, v2
	s_delay_alu instid0(VALU_DEP_1)
	v_lshl_or_b32 v17, v1, 2, v2
	ds_load_u16 v18, v17
	s_waitcnt lgkmcnt(0)
	v_add_nc_u16 v1, v18, 1
	ds_store_b16 v17, v1
	s_waitcnt lgkmcnt(0)
	s_barrier
	buffer_gl0_inv
	ds_load_2addr_b64 v[5:8], v11 offset1:1
	ds_load_2addr_b64 v[1:4], v11 offset0:2 offset1:3
	s_waitcnt lgkmcnt(1)
	v_add_nc_u32_e32 v19, v6, v5
	s_delay_alu instid0(VALU_DEP_1) | instskip(SKIP_1) | instid1(VALU_DEP_1)
	v_add3_u32 v19, v19, v7, v8
	s_waitcnt lgkmcnt(0)
	v_add3_u32 v19, v19, v1, v2
	s_delay_alu instid0(VALU_DEP_1) | instskip(NEXT) | instid1(VALU_DEP_1)
	v_add3_u32 v4, v19, v3, v4
	v_mov_b32_dpp v19, v4 row_shr:1 row_mask:0xf bank_mask:0xf
	s_delay_alu instid0(VALU_DEP_1) | instskip(NEXT) | instid1(VALU_DEP_1)
	v_cndmask_b32_e64 v19, v19, 0, s9
	v_add_nc_u32_e32 v4, v19, v4
	s_delay_alu instid0(VALU_DEP_1) | instskip(NEXT) | instid1(VALU_DEP_1)
	v_mov_b32_dpp v19, v4 row_shr:2 row_mask:0xf bank_mask:0xf
	v_cndmask_b32_e64 v19, 0, v19, s7
	s_delay_alu instid0(VALU_DEP_1) | instskip(NEXT) | instid1(VALU_DEP_1)
	v_add_nc_u32_e32 v4, v4, v19
	v_mov_b32_dpp v19, v4 row_shr:4 row_mask:0xf bank_mask:0xf
	s_delay_alu instid0(VALU_DEP_1) | instskip(NEXT) | instid1(VALU_DEP_1)
	v_cndmask_b32_e64 v19, 0, v19, s11
	v_add_nc_u32_e32 v4, v4, v19
	s_delay_alu instid0(VALU_DEP_1) | instskip(NEXT) | instid1(VALU_DEP_1)
	v_mov_b32_dpp v19, v4 row_shr:8 row_mask:0xf bank_mask:0xf
	v_cndmask_b32_e64 v19, 0, v19, s10
	s_delay_alu instid0(VALU_DEP_1) | instskip(SKIP_3) | instid1(VALU_DEP_1)
	v_add_nc_u32_e32 v4, v4, v19
	ds_swizzle_b32 v19, v4 offset:swizzle(BROADCAST,32,15)
	s_waitcnt lgkmcnt(0)
	v_cndmask_b32_e64 v19, v19, 0, s8
	v_add_nc_u32_e32 v19, v4, v19
	s_and_saveexec_b32 s12, s6
	s_cbranch_execz .LBB16_56
; %bb.55:
	ds_store_b32 v14, v19 offset:5184
.LBB16_56:
	s_or_b32 exec_lo, exec_lo, s12
	s_waitcnt lgkmcnt(0)
	s_barrier
	buffer_gl0_inv
	s_and_saveexec_b32 s12, s2
	s_cbranch_execz .LBB16_58
; %bb.57:
	ds_load_b32 v4, v12 offset:5184
	s_waitcnt lgkmcnt(0)
	v_mov_b32_dpp v20, v4 row_shr:1 row_mask:0xf bank_mask:0xf
	s_delay_alu instid0(VALU_DEP_1) | instskip(NEXT) | instid1(VALU_DEP_1)
	v_cndmask_b32_e64 v20, v20, 0, s5
	v_add_nc_u32_e32 v4, v20, v4
	s_delay_alu instid0(VALU_DEP_1) | instskip(NEXT) | instid1(VALU_DEP_1)
	v_mov_b32_dpp v20, v4 row_shr:2 row_mask:0xf bank_mask:0xf
	v_cndmask_b32_e64 v20, 0, v20, s4
	s_delay_alu instid0(VALU_DEP_1) | instskip(NEXT) | instid1(VALU_DEP_1)
	v_add_nc_u32_e32 v4, v4, v20
	v_mov_b32_dpp v20, v4 row_shr:4 row_mask:0xf bank_mask:0xf
	s_delay_alu instid0(VALU_DEP_1) | instskip(NEXT) | instid1(VALU_DEP_1)
	v_cndmask_b32_e64 v20, 0, v20, s3
	v_add_nc_u32_e32 v4, v4, v20
	ds_store_b32 v12, v4 offset:5184
.LBB16_58:
	s_or_b32 exec_lo, exec_lo, s12
	v_mov_b32_e32 v4, 0
	v_mov_b32_e32 v20, 0
	s_waitcnt lgkmcnt(0)
	s_barrier
	buffer_gl0_inv
	s_and_saveexec_b32 s12, s1
	s_cbranch_execz .LBB16_60
; %bb.59:
	ds_load_b32 v20, v14 offset:5180
.LBB16_60:
	s_or_b32 exec_lo, exec_lo, s12
	s_waitcnt lgkmcnt(0)
	v_add_nc_u32_e32 v19, v20, v19
	ds_load_b32 v21, v4 offset:5204
	ds_bpermute_b32 v19, v13, v19
	s_waitcnt lgkmcnt(0)
	v_cndmask_b32_e64 v19, v19, v20, s0
	s_delay_alu instid0(VALU_DEP_1) | instskip(NEXT) | instid1(VALU_DEP_1)
	v_lshl_add_u32 v19, v21, 16, v19
	v_add_nc_u32_e32 v20, v19, v5
	s_delay_alu instid0(VALU_DEP_1) | instskip(NEXT) | instid1(VALU_DEP_1)
	v_add_nc_u32_e32 v5, v20, v6
	v_add_nc_u32_e32 v6, v5, v7
	s_delay_alu instid0(VALU_DEP_1) | instskip(NEXT) | instid1(VALU_DEP_1)
	v_add_nc_u32_e32 v7, v6, v8
	;; [unrolled: 3-line block ×3, first 2 shown]
	v_add_nc_u32_e32 v2, v1, v3
	ds_store_2addr_b64 v11, v[19:20], v[5:6] offset1:1
	ds_store_2addr_b64 v11, v[7:8], v[1:2] offset0:2 offset1:3
	s_waitcnt lgkmcnt(0)
	s_barrier
	buffer_gl0_inv
	ds_load_u16 v1, v17
	v_and_b32_e32 v2, 0xffff, v18
	s_waitcnt lgkmcnt(0)
	s_barrier
	buffer_gl0_inv
	v_lshlrev_b32_e32 v2, 2, v2
	s_delay_alu instid0(VALU_DEP_1)
	v_lshl_add_u32 v1, v1, 2, v2
	ds_store_b32 v1, v16
	s_waitcnt lgkmcnt(0)
	s_barrier
	buffer_gl0_inv
	ds_load_b32 v16, v12
	s_waitcnt lgkmcnt(0)
	s_barrier
	buffer_gl0_inv
	ds_store_2addr_b32 v15, v4, v4 offset1:162
	s_and_saveexec_b32 s13, vcc_lo
	s_cbranch_execz .LBB16_67
; %bb.61:
	v_mov_b32_e32 v1, 0
	v_cmp_gt_u32_e64 s12, 0x32a, v0
	ds_store_b32 v15, v1 offset:1296
	s_and_b32 exec_lo, exec_lo, s12
	s_cbranch_execz .LBB16_67
; %bb.62:
	v_cmp_gt_u32_e64 s12, 0x288, v0
	ds_store_b32 v15, v1 offset:1944
	s_and_b32 exec_lo, exec_lo, s12
	s_cbranch_execz .LBB16_67
; %bb.63:
	v_mov_b32_e32 v1, 0
	v_cmp_gt_u32_e64 s12, 0x1e6, v0
	ds_store_b32 v15, v1 offset:2592
	s_and_b32 exec_lo, exec_lo, s12
	s_cbranch_execz .LBB16_67
; %bb.64:
	v_cmp_gt_u32_e64 s12, 0x144, v0
	ds_store_b32 v15, v1 offset:3240
	s_and_b32 exec_lo, exec_lo, s12
	s_cbranch_execz .LBB16_67
; %bb.65:
	v_mov_b32_e32 v1, 0
	v_cmp_gt_u32_e64 s12, 0xa2, v0
	ds_store_b32 v15, v1 offset:3888
	s_and_b32 exec_lo, exec_lo, s12
	s_cbranch_execz .LBB16_67
; %bb.66:
	ds_store_b32 v15, v1 offset:4536
.LBB16_67:
	s_or_b32 exec_lo, exec_lo, s13
	v_bfe_u32 v1, v16, 12, 3
	v_lshrrev_b32_e32 v2, 14, v16
	s_delay_alu instid0(VALU_DEP_2) | instskip(NEXT) | instid1(VALU_DEP_2)
	v_mad_u32_u24 v1, 0xa2, v1, v0
	v_and_b32_e32 v2, 2, v2
	s_delay_alu instid0(VALU_DEP_1)
	v_lshl_or_b32 v17, v1, 2, v2
	ds_load_u16 v18, v17
	s_waitcnt lgkmcnt(0)
	v_add_nc_u16 v1, v18, 1
	ds_store_b16 v17, v1
	s_waitcnt lgkmcnt(0)
	s_barrier
	buffer_gl0_inv
	ds_load_2addr_b64 v[5:8], v11 offset1:1
	ds_load_2addr_b64 v[1:4], v11 offset0:2 offset1:3
	s_waitcnt lgkmcnt(1)
	v_add_nc_u32_e32 v19, v6, v5
	s_delay_alu instid0(VALU_DEP_1) | instskip(SKIP_1) | instid1(VALU_DEP_1)
	v_add3_u32 v19, v19, v7, v8
	s_waitcnt lgkmcnt(0)
	v_add3_u32 v19, v19, v1, v2
	s_delay_alu instid0(VALU_DEP_1) | instskip(NEXT) | instid1(VALU_DEP_1)
	v_add3_u32 v4, v19, v3, v4
	v_mov_b32_dpp v19, v4 row_shr:1 row_mask:0xf bank_mask:0xf
	s_delay_alu instid0(VALU_DEP_1) | instskip(NEXT) | instid1(VALU_DEP_1)
	v_cndmask_b32_e64 v19, v19, 0, s9
	v_add_nc_u32_e32 v4, v19, v4
	s_delay_alu instid0(VALU_DEP_1) | instskip(NEXT) | instid1(VALU_DEP_1)
	v_mov_b32_dpp v19, v4 row_shr:2 row_mask:0xf bank_mask:0xf
	v_cndmask_b32_e64 v19, 0, v19, s7
	s_delay_alu instid0(VALU_DEP_1) | instskip(NEXT) | instid1(VALU_DEP_1)
	v_add_nc_u32_e32 v4, v4, v19
	v_mov_b32_dpp v19, v4 row_shr:4 row_mask:0xf bank_mask:0xf
	s_delay_alu instid0(VALU_DEP_1) | instskip(NEXT) | instid1(VALU_DEP_1)
	v_cndmask_b32_e64 v19, 0, v19, s11
	v_add_nc_u32_e32 v4, v4, v19
	s_delay_alu instid0(VALU_DEP_1) | instskip(NEXT) | instid1(VALU_DEP_1)
	v_mov_b32_dpp v19, v4 row_shr:8 row_mask:0xf bank_mask:0xf
	v_cndmask_b32_e64 v19, 0, v19, s10
	s_delay_alu instid0(VALU_DEP_1) | instskip(SKIP_3) | instid1(VALU_DEP_1)
	v_add_nc_u32_e32 v4, v4, v19
	ds_swizzle_b32 v19, v4 offset:swizzle(BROADCAST,32,15)
	s_waitcnt lgkmcnt(0)
	v_cndmask_b32_e64 v19, v19, 0, s8
	v_add_nc_u32_e32 v19, v4, v19
	s_and_saveexec_b32 s12, s6
	s_cbranch_execz .LBB16_69
; %bb.68:
	ds_store_b32 v14, v19 offset:5184
.LBB16_69:
	s_or_b32 exec_lo, exec_lo, s12
	s_waitcnt lgkmcnt(0)
	s_barrier
	buffer_gl0_inv
	s_and_saveexec_b32 s12, s2
	s_cbranch_execz .LBB16_71
; %bb.70:
	ds_load_b32 v4, v12 offset:5184
	s_waitcnt lgkmcnt(0)
	v_mov_b32_dpp v20, v4 row_shr:1 row_mask:0xf bank_mask:0xf
	s_delay_alu instid0(VALU_DEP_1) | instskip(NEXT) | instid1(VALU_DEP_1)
	v_cndmask_b32_e64 v20, v20, 0, s5
	v_add_nc_u32_e32 v4, v20, v4
	s_delay_alu instid0(VALU_DEP_1) | instskip(NEXT) | instid1(VALU_DEP_1)
	v_mov_b32_dpp v20, v4 row_shr:2 row_mask:0xf bank_mask:0xf
	v_cndmask_b32_e64 v20, 0, v20, s4
	s_delay_alu instid0(VALU_DEP_1) | instskip(NEXT) | instid1(VALU_DEP_1)
	v_add_nc_u32_e32 v4, v4, v20
	v_mov_b32_dpp v20, v4 row_shr:4 row_mask:0xf bank_mask:0xf
	s_delay_alu instid0(VALU_DEP_1) | instskip(NEXT) | instid1(VALU_DEP_1)
	v_cndmask_b32_e64 v20, 0, v20, s3
	v_add_nc_u32_e32 v4, v4, v20
	ds_store_b32 v12, v4 offset:5184
.LBB16_71:
	s_or_b32 exec_lo, exec_lo, s12
	v_mov_b32_e32 v4, 0
	v_mov_b32_e32 v20, 0
	s_waitcnt lgkmcnt(0)
	s_barrier
	buffer_gl0_inv
	s_and_saveexec_b32 s12, s1
	s_cbranch_execz .LBB16_73
; %bb.72:
	ds_load_b32 v20, v14 offset:5180
.LBB16_73:
	s_or_b32 exec_lo, exec_lo, s12
	s_waitcnt lgkmcnt(0)
	v_add_nc_u32_e32 v19, v20, v19
	ds_load_b32 v21, v4 offset:5204
	ds_bpermute_b32 v19, v13, v19
	s_waitcnt lgkmcnt(0)
	v_cndmask_b32_e64 v19, v19, v20, s0
	s_delay_alu instid0(VALU_DEP_1) | instskip(NEXT) | instid1(VALU_DEP_1)
	v_lshl_add_u32 v19, v21, 16, v19
	v_add_nc_u32_e32 v20, v19, v5
	s_delay_alu instid0(VALU_DEP_1) | instskip(NEXT) | instid1(VALU_DEP_1)
	v_add_nc_u32_e32 v5, v20, v6
	v_add_nc_u32_e32 v6, v5, v7
	s_delay_alu instid0(VALU_DEP_1) | instskip(NEXT) | instid1(VALU_DEP_1)
	v_add_nc_u32_e32 v7, v6, v8
	;; [unrolled: 3-line block ×3, first 2 shown]
	v_add_nc_u32_e32 v2, v1, v3
	ds_store_2addr_b64 v11, v[19:20], v[5:6] offset1:1
	ds_store_2addr_b64 v11, v[7:8], v[1:2] offset0:2 offset1:3
	s_waitcnt lgkmcnt(0)
	s_barrier
	buffer_gl0_inv
	ds_load_u16 v1, v17
	v_and_b32_e32 v2, 0xffff, v18
	s_waitcnt lgkmcnt(0)
	s_barrier
	buffer_gl0_inv
	v_lshlrev_b32_e32 v2, 2, v2
	s_delay_alu instid0(VALU_DEP_1)
	v_lshl_add_u32 v1, v1, 2, v2
	ds_store_b32 v1, v16
	s_waitcnt lgkmcnt(0)
	s_barrier
	buffer_gl0_inv
	ds_load_b32 v16, v12
	s_waitcnt lgkmcnt(0)
	s_barrier
	buffer_gl0_inv
	ds_store_2addr_b32 v15, v4, v4 offset1:162
	s_and_saveexec_b32 s13, vcc_lo
	s_cbranch_execz .LBB16_80
; %bb.74:
	v_mov_b32_e32 v1, 0
	v_cmp_gt_u32_e64 s12, 0x32a, v0
	ds_store_b32 v15, v1 offset:1296
	s_and_b32 exec_lo, exec_lo, s12
	s_cbranch_execz .LBB16_80
; %bb.75:
	v_cmp_gt_u32_e64 s12, 0x288, v0
	ds_store_b32 v15, v1 offset:1944
	s_and_b32 exec_lo, exec_lo, s12
	s_cbranch_execz .LBB16_80
; %bb.76:
	v_mov_b32_e32 v1, 0
	v_cmp_gt_u32_e64 s12, 0x1e6, v0
	ds_store_b32 v15, v1 offset:2592
	s_and_b32 exec_lo, exec_lo, s12
	s_cbranch_execz .LBB16_80
; %bb.77:
	v_cmp_gt_u32_e64 s12, 0x144, v0
	ds_store_b32 v15, v1 offset:3240
	s_and_b32 exec_lo, exec_lo, s12
	s_cbranch_execz .LBB16_80
; %bb.78:
	v_mov_b32_e32 v1, 0
	v_cmp_gt_u32_e64 s12, 0xa2, v0
	ds_store_b32 v15, v1 offset:3888
	s_and_b32 exec_lo, exec_lo, s12
	s_cbranch_execz .LBB16_80
; %bb.79:
	ds_store_b32 v15, v1 offset:4536
.LBB16_80:
	s_or_b32 exec_lo, exec_lo, s13
	v_bfe_u32 v1, v16, 16, 3
	v_lshrrev_b32_e32 v2, 18, v16
	s_delay_alu instid0(VALU_DEP_2) | instskip(NEXT) | instid1(VALU_DEP_2)
	v_mad_u32_u24 v1, 0xa2, v1, v0
	v_and_b32_e32 v2, 2, v2
	s_delay_alu instid0(VALU_DEP_1)
	v_lshl_or_b32 v17, v1, 2, v2
	ds_load_u16 v18, v17
	s_waitcnt lgkmcnt(0)
	v_add_nc_u16 v1, v18, 1
	ds_store_b16 v17, v1
	s_waitcnt lgkmcnt(0)
	s_barrier
	buffer_gl0_inv
	ds_load_2addr_b64 v[5:8], v11 offset1:1
	ds_load_2addr_b64 v[1:4], v11 offset0:2 offset1:3
	s_waitcnt lgkmcnt(1)
	v_add_nc_u32_e32 v19, v6, v5
	s_delay_alu instid0(VALU_DEP_1) | instskip(SKIP_1) | instid1(VALU_DEP_1)
	v_add3_u32 v19, v19, v7, v8
	s_waitcnt lgkmcnt(0)
	v_add3_u32 v19, v19, v1, v2
	s_delay_alu instid0(VALU_DEP_1) | instskip(NEXT) | instid1(VALU_DEP_1)
	v_add3_u32 v4, v19, v3, v4
	v_mov_b32_dpp v19, v4 row_shr:1 row_mask:0xf bank_mask:0xf
	s_delay_alu instid0(VALU_DEP_1) | instskip(NEXT) | instid1(VALU_DEP_1)
	v_cndmask_b32_e64 v19, v19, 0, s9
	v_add_nc_u32_e32 v4, v19, v4
	s_delay_alu instid0(VALU_DEP_1) | instskip(NEXT) | instid1(VALU_DEP_1)
	v_mov_b32_dpp v19, v4 row_shr:2 row_mask:0xf bank_mask:0xf
	v_cndmask_b32_e64 v19, 0, v19, s7
	s_delay_alu instid0(VALU_DEP_1) | instskip(NEXT) | instid1(VALU_DEP_1)
	v_add_nc_u32_e32 v4, v4, v19
	v_mov_b32_dpp v19, v4 row_shr:4 row_mask:0xf bank_mask:0xf
	s_delay_alu instid0(VALU_DEP_1) | instskip(NEXT) | instid1(VALU_DEP_1)
	v_cndmask_b32_e64 v19, 0, v19, s11
	v_add_nc_u32_e32 v4, v4, v19
	s_delay_alu instid0(VALU_DEP_1) | instskip(NEXT) | instid1(VALU_DEP_1)
	v_mov_b32_dpp v19, v4 row_shr:8 row_mask:0xf bank_mask:0xf
	v_cndmask_b32_e64 v19, 0, v19, s10
	s_delay_alu instid0(VALU_DEP_1) | instskip(SKIP_3) | instid1(VALU_DEP_1)
	v_add_nc_u32_e32 v4, v4, v19
	ds_swizzle_b32 v19, v4 offset:swizzle(BROADCAST,32,15)
	s_waitcnt lgkmcnt(0)
	v_cndmask_b32_e64 v19, v19, 0, s8
	v_add_nc_u32_e32 v19, v4, v19
	s_and_saveexec_b32 s12, s6
	s_cbranch_execz .LBB16_82
; %bb.81:
	ds_store_b32 v14, v19 offset:5184
.LBB16_82:
	s_or_b32 exec_lo, exec_lo, s12
	s_waitcnt lgkmcnt(0)
	s_barrier
	buffer_gl0_inv
	s_and_saveexec_b32 s12, s2
	s_cbranch_execz .LBB16_84
; %bb.83:
	ds_load_b32 v4, v12 offset:5184
	s_waitcnt lgkmcnt(0)
	v_mov_b32_dpp v20, v4 row_shr:1 row_mask:0xf bank_mask:0xf
	s_delay_alu instid0(VALU_DEP_1) | instskip(NEXT) | instid1(VALU_DEP_1)
	v_cndmask_b32_e64 v20, v20, 0, s5
	v_add_nc_u32_e32 v4, v20, v4
	s_delay_alu instid0(VALU_DEP_1) | instskip(NEXT) | instid1(VALU_DEP_1)
	v_mov_b32_dpp v20, v4 row_shr:2 row_mask:0xf bank_mask:0xf
	v_cndmask_b32_e64 v20, 0, v20, s4
	s_delay_alu instid0(VALU_DEP_1) | instskip(NEXT) | instid1(VALU_DEP_1)
	v_add_nc_u32_e32 v4, v4, v20
	v_mov_b32_dpp v20, v4 row_shr:4 row_mask:0xf bank_mask:0xf
	s_delay_alu instid0(VALU_DEP_1) | instskip(NEXT) | instid1(VALU_DEP_1)
	v_cndmask_b32_e64 v20, 0, v20, s3
	v_add_nc_u32_e32 v4, v4, v20
	ds_store_b32 v12, v4 offset:5184
.LBB16_84:
	s_or_b32 exec_lo, exec_lo, s12
	v_mov_b32_e32 v4, 0
	v_mov_b32_e32 v20, 0
	s_waitcnt lgkmcnt(0)
	s_barrier
	buffer_gl0_inv
	s_and_saveexec_b32 s12, s1
	s_cbranch_execz .LBB16_86
; %bb.85:
	ds_load_b32 v20, v14 offset:5180
.LBB16_86:
	s_or_b32 exec_lo, exec_lo, s12
	s_waitcnt lgkmcnt(0)
	v_add_nc_u32_e32 v19, v20, v19
	ds_load_b32 v21, v4 offset:5204
	ds_bpermute_b32 v19, v13, v19
	s_waitcnt lgkmcnt(0)
	v_cndmask_b32_e64 v19, v19, v20, s0
	s_delay_alu instid0(VALU_DEP_1) | instskip(NEXT) | instid1(VALU_DEP_1)
	v_lshl_add_u32 v19, v21, 16, v19
	v_add_nc_u32_e32 v20, v19, v5
	s_delay_alu instid0(VALU_DEP_1) | instskip(NEXT) | instid1(VALU_DEP_1)
	v_add_nc_u32_e32 v5, v20, v6
	v_add_nc_u32_e32 v6, v5, v7
	s_delay_alu instid0(VALU_DEP_1) | instskip(NEXT) | instid1(VALU_DEP_1)
	v_add_nc_u32_e32 v7, v6, v8
	;; [unrolled: 3-line block ×3, first 2 shown]
	v_add_nc_u32_e32 v2, v1, v3
	ds_store_2addr_b64 v11, v[19:20], v[5:6] offset1:1
	ds_store_2addr_b64 v11, v[7:8], v[1:2] offset0:2 offset1:3
	s_waitcnt lgkmcnt(0)
	s_barrier
	buffer_gl0_inv
	ds_load_u16 v1, v17
	v_and_b32_e32 v2, 0xffff, v18
	s_waitcnt lgkmcnt(0)
	s_barrier
	buffer_gl0_inv
	v_lshlrev_b32_e32 v2, 2, v2
	s_delay_alu instid0(VALU_DEP_1)
	v_lshl_add_u32 v1, v1, 2, v2
	ds_store_b32 v1, v16
	s_waitcnt lgkmcnt(0)
	s_barrier
	buffer_gl0_inv
	ds_load_b32 v16, v12
	s_waitcnt lgkmcnt(0)
	s_barrier
	buffer_gl0_inv
	ds_store_2addr_b32 v15, v4, v4 offset1:162
	s_and_saveexec_b32 s13, vcc_lo
	s_cbranch_execz .LBB16_93
; %bb.87:
	v_mov_b32_e32 v1, 0
	v_cmp_gt_u32_e64 s12, 0x32a, v0
	ds_store_b32 v15, v1 offset:1296
	s_and_b32 exec_lo, exec_lo, s12
	s_cbranch_execz .LBB16_93
; %bb.88:
	v_cmp_gt_u32_e64 s12, 0x288, v0
	ds_store_b32 v15, v1 offset:1944
	s_and_b32 exec_lo, exec_lo, s12
	s_cbranch_execz .LBB16_93
; %bb.89:
	v_mov_b32_e32 v1, 0
	v_cmp_gt_u32_e64 s12, 0x1e6, v0
	ds_store_b32 v15, v1 offset:2592
	s_and_b32 exec_lo, exec_lo, s12
	s_cbranch_execz .LBB16_93
; %bb.90:
	v_cmp_gt_u32_e64 s12, 0x144, v0
	ds_store_b32 v15, v1 offset:3240
	s_and_b32 exec_lo, exec_lo, s12
	s_cbranch_execz .LBB16_93
; %bb.91:
	v_mov_b32_e32 v1, 0
	v_cmp_gt_u32_e64 s12, 0xa2, v0
	ds_store_b32 v15, v1 offset:3888
	s_and_b32 exec_lo, exec_lo, s12
	s_cbranch_execz .LBB16_93
; %bb.92:
	ds_store_b32 v15, v1 offset:4536
.LBB16_93:
	s_or_b32 exec_lo, exec_lo, s13
	v_bfe_u32 v1, v16, 20, 3
	v_lshrrev_b32_e32 v2, 22, v16
	s_delay_alu instid0(VALU_DEP_2) | instskip(NEXT) | instid1(VALU_DEP_2)
	v_mad_u32_u24 v1, 0xa2, v1, v0
	v_and_b32_e32 v2, 2, v2
	s_delay_alu instid0(VALU_DEP_1)
	v_lshl_or_b32 v17, v1, 2, v2
	ds_load_u16 v18, v17
	s_waitcnt lgkmcnt(0)
	v_add_nc_u16 v1, v18, 1
	ds_store_b16 v17, v1
	s_waitcnt lgkmcnt(0)
	s_barrier
	buffer_gl0_inv
	ds_load_2addr_b64 v[5:8], v11 offset1:1
	ds_load_2addr_b64 v[1:4], v11 offset0:2 offset1:3
	s_waitcnt lgkmcnt(1)
	v_add_nc_u32_e32 v19, v6, v5
	s_delay_alu instid0(VALU_DEP_1) | instskip(SKIP_1) | instid1(VALU_DEP_1)
	v_add3_u32 v19, v19, v7, v8
	s_waitcnt lgkmcnt(0)
	v_add3_u32 v19, v19, v1, v2
	s_delay_alu instid0(VALU_DEP_1) | instskip(NEXT) | instid1(VALU_DEP_1)
	v_add3_u32 v4, v19, v3, v4
	v_mov_b32_dpp v19, v4 row_shr:1 row_mask:0xf bank_mask:0xf
	s_delay_alu instid0(VALU_DEP_1) | instskip(NEXT) | instid1(VALU_DEP_1)
	v_cndmask_b32_e64 v19, v19, 0, s9
	v_add_nc_u32_e32 v4, v19, v4
	s_delay_alu instid0(VALU_DEP_1) | instskip(NEXT) | instid1(VALU_DEP_1)
	v_mov_b32_dpp v19, v4 row_shr:2 row_mask:0xf bank_mask:0xf
	v_cndmask_b32_e64 v19, 0, v19, s7
	s_delay_alu instid0(VALU_DEP_1) | instskip(NEXT) | instid1(VALU_DEP_1)
	v_add_nc_u32_e32 v4, v4, v19
	v_mov_b32_dpp v19, v4 row_shr:4 row_mask:0xf bank_mask:0xf
	s_delay_alu instid0(VALU_DEP_1) | instskip(NEXT) | instid1(VALU_DEP_1)
	v_cndmask_b32_e64 v19, 0, v19, s11
	v_add_nc_u32_e32 v4, v4, v19
	s_delay_alu instid0(VALU_DEP_1) | instskip(NEXT) | instid1(VALU_DEP_1)
	v_mov_b32_dpp v19, v4 row_shr:8 row_mask:0xf bank_mask:0xf
	v_cndmask_b32_e64 v19, 0, v19, s10
	s_delay_alu instid0(VALU_DEP_1) | instskip(SKIP_3) | instid1(VALU_DEP_1)
	v_add_nc_u32_e32 v4, v4, v19
	ds_swizzle_b32 v19, v4 offset:swizzle(BROADCAST,32,15)
	s_waitcnt lgkmcnt(0)
	v_cndmask_b32_e64 v19, v19, 0, s8
	v_add_nc_u32_e32 v19, v4, v19
	s_and_saveexec_b32 s12, s6
	s_cbranch_execz .LBB16_95
; %bb.94:
	ds_store_b32 v14, v19 offset:5184
.LBB16_95:
	s_or_b32 exec_lo, exec_lo, s12
	s_waitcnt lgkmcnt(0)
	s_barrier
	buffer_gl0_inv
	s_and_saveexec_b32 s12, s2
	s_cbranch_execz .LBB16_97
; %bb.96:
	ds_load_b32 v4, v12 offset:5184
	s_waitcnt lgkmcnt(0)
	v_mov_b32_dpp v20, v4 row_shr:1 row_mask:0xf bank_mask:0xf
	s_delay_alu instid0(VALU_DEP_1) | instskip(NEXT) | instid1(VALU_DEP_1)
	v_cndmask_b32_e64 v20, v20, 0, s5
	v_add_nc_u32_e32 v4, v20, v4
	s_delay_alu instid0(VALU_DEP_1) | instskip(NEXT) | instid1(VALU_DEP_1)
	v_mov_b32_dpp v20, v4 row_shr:2 row_mask:0xf bank_mask:0xf
	v_cndmask_b32_e64 v20, 0, v20, s4
	s_delay_alu instid0(VALU_DEP_1) | instskip(NEXT) | instid1(VALU_DEP_1)
	v_add_nc_u32_e32 v4, v4, v20
	v_mov_b32_dpp v20, v4 row_shr:4 row_mask:0xf bank_mask:0xf
	s_delay_alu instid0(VALU_DEP_1) | instskip(NEXT) | instid1(VALU_DEP_1)
	v_cndmask_b32_e64 v20, 0, v20, s3
	v_add_nc_u32_e32 v4, v4, v20
	ds_store_b32 v12, v4 offset:5184
.LBB16_97:
	s_or_b32 exec_lo, exec_lo, s12
	v_mov_b32_e32 v4, 0
	v_mov_b32_e32 v20, 0
	s_waitcnt lgkmcnt(0)
	s_barrier
	buffer_gl0_inv
	s_and_saveexec_b32 s12, s1
	s_cbranch_execz .LBB16_99
; %bb.98:
	ds_load_b32 v20, v14 offset:5180
.LBB16_99:
	s_or_b32 exec_lo, exec_lo, s12
	s_waitcnt lgkmcnt(0)
	v_add_nc_u32_e32 v19, v20, v19
	ds_load_b32 v21, v4 offset:5204
	ds_bpermute_b32 v19, v13, v19
	s_waitcnt lgkmcnt(0)
	v_cndmask_b32_e64 v19, v19, v20, s0
	s_delay_alu instid0(VALU_DEP_1) | instskip(NEXT) | instid1(VALU_DEP_1)
	v_lshl_add_u32 v19, v21, 16, v19
	v_add_nc_u32_e32 v20, v19, v5
	s_delay_alu instid0(VALU_DEP_1) | instskip(NEXT) | instid1(VALU_DEP_1)
	v_add_nc_u32_e32 v5, v20, v6
	v_add_nc_u32_e32 v6, v5, v7
	s_delay_alu instid0(VALU_DEP_1) | instskip(NEXT) | instid1(VALU_DEP_1)
	v_add_nc_u32_e32 v7, v6, v8
	;; [unrolled: 3-line block ×3, first 2 shown]
	v_add_nc_u32_e32 v2, v1, v3
	ds_store_2addr_b64 v11, v[19:20], v[5:6] offset1:1
	ds_store_2addr_b64 v11, v[7:8], v[1:2] offset0:2 offset1:3
	s_waitcnt lgkmcnt(0)
	s_barrier
	buffer_gl0_inv
	ds_load_u16 v1, v17
	v_and_b32_e32 v2, 0xffff, v18
	s_waitcnt lgkmcnt(0)
	s_barrier
	buffer_gl0_inv
	v_lshlrev_b32_e32 v2, 2, v2
	s_delay_alu instid0(VALU_DEP_1)
	v_lshl_add_u32 v1, v1, 2, v2
	ds_store_b32 v1, v16
	s_waitcnt lgkmcnt(0)
	s_barrier
	buffer_gl0_inv
	ds_load_b32 v16, v12
	s_waitcnt lgkmcnt(0)
	s_barrier
	buffer_gl0_inv
	ds_store_2addr_b32 v15, v4, v4 offset1:162
	s_and_saveexec_b32 s13, vcc_lo
	s_cbranch_execz .LBB16_106
; %bb.100:
	v_mov_b32_e32 v1, 0
	v_cmp_gt_u32_e64 s12, 0x32a, v0
	ds_store_b32 v15, v1 offset:1296
	s_and_b32 exec_lo, exec_lo, s12
	s_cbranch_execz .LBB16_106
; %bb.101:
	v_cmp_gt_u32_e64 s12, 0x288, v0
	ds_store_b32 v15, v1 offset:1944
	s_and_b32 exec_lo, exec_lo, s12
	s_cbranch_execz .LBB16_106
; %bb.102:
	v_mov_b32_e32 v1, 0
	v_cmp_gt_u32_e64 s12, 0x1e6, v0
	ds_store_b32 v15, v1 offset:2592
	s_and_b32 exec_lo, exec_lo, s12
	s_cbranch_execz .LBB16_106
; %bb.103:
	v_cmp_gt_u32_e64 s12, 0x144, v0
	ds_store_b32 v15, v1 offset:3240
	s_and_b32 exec_lo, exec_lo, s12
	s_cbranch_execz .LBB16_106
; %bb.104:
	v_mov_b32_e32 v1, 0
	v_cmp_gt_u32_e64 s12, 0xa2, v0
	ds_store_b32 v15, v1 offset:3888
	s_and_b32 exec_lo, exec_lo, s12
	s_cbranch_execz .LBB16_106
; %bb.105:
	ds_store_b32 v15, v1 offset:4536
.LBB16_106:
	s_or_b32 exec_lo, exec_lo, s13
	v_bfe_u32 v1, v16, 24, 3
	v_lshrrev_b32_e32 v2, 26, v16
	s_delay_alu instid0(VALU_DEP_2) | instskip(NEXT) | instid1(VALU_DEP_2)
	v_mad_u32_u24 v1, 0xa2, v1, v0
	v_and_b32_e32 v2, 2, v2
	s_delay_alu instid0(VALU_DEP_1)
	v_lshl_or_b32 v17, v1, 2, v2
	ds_load_u16 v18, v17
	s_waitcnt lgkmcnt(0)
	v_add_nc_u16 v1, v18, 1
	ds_store_b16 v17, v1
	s_waitcnt lgkmcnt(0)
	s_barrier
	buffer_gl0_inv
	ds_load_2addr_b64 v[5:8], v11 offset1:1
	ds_load_2addr_b64 v[1:4], v11 offset0:2 offset1:3
	s_waitcnt lgkmcnt(1)
	v_add_nc_u32_e32 v19, v6, v5
	s_delay_alu instid0(VALU_DEP_1) | instskip(SKIP_1) | instid1(VALU_DEP_1)
	v_add3_u32 v19, v19, v7, v8
	s_waitcnt lgkmcnt(0)
	v_add3_u32 v19, v19, v1, v2
	s_delay_alu instid0(VALU_DEP_1) | instskip(NEXT) | instid1(VALU_DEP_1)
	v_add3_u32 v4, v19, v3, v4
	v_mov_b32_dpp v19, v4 row_shr:1 row_mask:0xf bank_mask:0xf
	s_delay_alu instid0(VALU_DEP_1) | instskip(NEXT) | instid1(VALU_DEP_1)
	v_cndmask_b32_e64 v19, v19, 0, s9
	v_add_nc_u32_e32 v4, v19, v4
	s_delay_alu instid0(VALU_DEP_1) | instskip(NEXT) | instid1(VALU_DEP_1)
	v_mov_b32_dpp v19, v4 row_shr:2 row_mask:0xf bank_mask:0xf
	v_cndmask_b32_e64 v19, 0, v19, s7
	s_delay_alu instid0(VALU_DEP_1) | instskip(NEXT) | instid1(VALU_DEP_1)
	v_add_nc_u32_e32 v4, v4, v19
	v_mov_b32_dpp v19, v4 row_shr:4 row_mask:0xf bank_mask:0xf
	s_delay_alu instid0(VALU_DEP_1) | instskip(NEXT) | instid1(VALU_DEP_1)
	v_cndmask_b32_e64 v19, 0, v19, s11
	v_add_nc_u32_e32 v4, v4, v19
	s_delay_alu instid0(VALU_DEP_1) | instskip(NEXT) | instid1(VALU_DEP_1)
	v_mov_b32_dpp v19, v4 row_shr:8 row_mask:0xf bank_mask:0xf
	v_cndmask_b32_e64 v19, 0, v19, s10
	s_delay_alu instid0(VALU_DEP_1) | instskip(SKIP_3) | instid1(VALU_DEP_1)
	v_add_nc_u32_e32 v4, v4, v19
	ds_swizzle_b32 v19, v4 offset:swizzle(BROADCAST,32,15)
	s_waitcnt lgkmcnt(0)
	v_cndmask_b32_e64 v19, v19, 0, s8
	v_add_nc_u32_e32 v19, v4, v19
	s_and_saveexec_b32 s12, s6
	s_cbranch_execz .LBB16_108
; %bb.107:
	ds_store_b32 v14, v19 offset:5184
.LBB16_108:
	s_or_b32 exec_lo, exec_lo, s12
	s_waitcnt lgkmcnt(0)
	s_barrier
	buffer_gl0_inv
	s_and_saveexec_b32 s12, s2
	s_cbranch_execz .LBB16_110
; %bb.109:
	ds_load_b32 v4, v12 offset:5184
	s_waitcnt lgkmcnt(0)
	v_mov_b32_dpp v20, v4 row_shr:1 row_mask:0xf bank_mask:0xf
	s_delay_alu instid0(VALU_DEP_1) | instskip(NEXT) | instid1(VALU_DEP_1)
	v_cndmask_b32_e64 v20, v20, 0, s5
	v_add_nc_u32_e32 v4, v20, v4
	s_delay_alu instid0(VALU_DEP_1) | instskip(NEXT) | instid1(VALU_DEP_1)
	v_mov_b32_dpp v20, v4 row_shr:2 row_mask:0xf bank_mask:0xf
	v_cndmask_b32_e64 v20, 0, v20, s4
	s_delay_alu instid0(VALU_DEP_1) | instskip(NEXT) | instid1(VALU_DEP_1)
	v_add_nc_u32_e32 v4, v4, v20
	v_mov_b32_dpp v20, v4 row_shr:4 row_mask:0xf bank_mask:0xf
	s_delay_alu instid0(VALU_DEP_1) | instskip(NEXT) | instid1(VALU_DEP_1)
	v_cndmask_b32_e64 v20, 0, v20, s3
	v_add_nc_u32_e32 v4, v4, v20
	ds_store_b32 v12, v4 offset:5184
.LBB16_110:
	s_or_b32 exec_lo, exec_lo, s12
	v_mov_b32_e32 v4, 0
	v_mov_b32_e32 v20, 0
	s_waitcnt lgkmcnt(0)
	s_barrier
	buffer_gl0_inv
	s_and_saveexec_b32 s12, s1
	s_cbranch_execz .LBB16_112
; %bb.111:
	ds_load_b32 v20, v14 offset:5180
.LBB16_112:
	s_or_b32 exec_lo, exec_lo, s12
	s_waitcnt lgkmcnt(0)
	v_add_nc_u32_e32 v19, v20, v19
	ds_load_b32 v21, v4 offset:5204
	ds_bpermute_b32 v19, v13, v19
	s_waitcnt lgkmcnt(0)
	v_cndmask_b32_e64 v19, v19, v20, s0
	s_delay_alu instid0(VALU_DEP_1) | instskip(NEXT) | instid1(VALU_DEP_1)
	v_lshl_add_u32 v19, v21, 16, v19
	v_add_nc_u32_e32 v20, v19, v5
	s_delay_alu instid0(VALU_DEP_1) | instskip(NEXT) | instid1(VALU_DEP_1)
	v_add_nc_u32_e32 v5, v20, v6
	v_add_nc_u32_e32 v6, v5, v7
	s_delay_alu instid0(VALU_DEP_1) | instskip(NEXT) | instid1(VALU_DEP_1)
	v_add_nc_u32_e32 v7, v6, v8
	v_add_nc_u32_e32 v8, v7, v1
	s_delay_alu instid0(VALU_DEP_1) | instskip(NEXT) | instid1(VALU_DEP_1)
	v_add_nc_u32_e32 v1, v8, v2
	v_add_nc_u32_e32 v2, v1, v3
	ds_store_2addr_b64 v11, v[19:20], v[5:6] offset1:1
	ds_store_2addr_b64 v11, v[7:8], v[1:2] offset0:2 offset1:3
	s_waitcnt lgkmcnt(0)
	s_barrier
	buffer_gl0_inv
	ds_load_u16 v1, v17
	v_and_b32_e32 v2, 0xffff, v18
	s_waitcnt lgkmcnt(0)
	s_barrier
	buffer_gl0_inv
	v_lshlrev_b32_e32 v2, 2, v2
	s_delay_alu instid0(VALU_DEP_1)
	v_lshl_add_u32 v1, v1, 2, v2
	ds_store_b32 v1, v16
	s_waitcnt lgkmcnt(0)
	s_barrier
	buffer_gl0_inv
	ds_load_b32 v8, v12
	s_waitcnt lgkmcnt(0)
	s_barrier
	buffer_gl0_inv
	ds_store_2addr_b32 v15, v4, v4 offset1:162
	s_and_saveexec_b32 s12, vcc_lo
	s_cbranch_execz .LBB16_119
; %bb.113:
	v_mov_b32_e32 v1, 0
	v_cmp_gt_u32_e32 vcc_lo, 0x32a, v0
	ds_store_b32 v15, v1 offset:1296
	s_and_b32 exec_lo, exec_lo, vcc_lo
	s_cbranch_execz .LBB16_119
; %bb.114:
	v_cmp_gt_u32_e32 vcc_lo, 0x288, v0
	ds_store_b32 v15, v1 offset:1944
	s_and_b32 exec_lo, exec_lo, vcc_lo
	s_cbranch_execz .LBB16_119
; %bb.115:
	v_mov_b32_e32 v1, 0
	v_cmp_gt_u32_e32 vcc_lo, 0x1e6, v0
	ds_store_b32 v15, v1 offset:2592
	s_and_b32 exec_lo, exec_lo, vcc_lo
	s_cbranch_execz .LBB16_119
; %bb.116:
	v_cmp_gt_u32_e32 vcc_lo, 0x144, v0
	ds_store_b32 v15, v1 offset:3240
	s_and_b32 exec_lo, exec_lo, vcc_lo
	s_cbranch_execz .LBB16_119
; %bb.117:
	v_mov_b32_e32 v1, 0
	v_cmp_gt_u32_e32 vcc_lo, 0xa2, v0
	ds_store_b32 v15, v1 offset:3888
	s_and_b32 exec_lo, exec_lo, vcc_lo
	s_cbranch_execz .LBB16_119
; %bb.118:
	ds_store_b32 v15, v1 offset:4536
.LBB16_119:
	s_or_b32 exec_lo, exec_lo, s12
	v_bfe_u32 v1, v8, 28, 3
	s_delay_alu instid0(VALU_DEP_1) | instskip(NEXT) | instid1(VALU_DEP_1)
	v_mad_u32_u24 v0, 0xa2, v1, v0
	v_alignbit_b32 v0, v0, v8, 31
	s_delay_alu instid0(VALU_DEP_1)
	v_lshlrev_b32_e32 v15, 1, v0
	ds_load_u16 v16, v15
	s_waitcnt lgkmcnt(0)
	v_add_nc_u16 v0, v16, 1
	ds_store_b16 v15, v0
	s_waitcnt lgkmcnt(0)
	s_barrier
	buffer_gl0_inv
	ds_load_2addr_b64 v[4:7], v11 offset1:1
	ds_load_2addr_b64 v[0:3], v11 offset0:2 offset1:3
	s_waitcnt lgkmcnt(1)
	v_add_nc_u32_e32 v17, v5, v4
	s_delay_alu instid0(VALU_DEP_1) | instskip(SKIP_1) | instid1(VALU_DEP_1)
	v_add3_u32 v17, v17, v6, v7
	s_waitcnt lgkmcnt(0)
	v_add3_u32 v17, v17, v0, v1
	s_delay_alu instid0(VALU_DEP_1) | instskip(NEXT) | instid1(VALU_DEP_1)
	v_add3_u32 v3, v17, v2, v3
	v_mov_b32_dpp v17, v3 row_shr:1 row_mask:0xf bank_mask:0xf
	s_delay_alu instid0(VALU_DEP_1) | instskip(NEXT) | instid1(VALU_DEP_1)
	v_cndmask_b32_e64 v17, v17, 0, s9
	v_add_nc_u32_e32 v3, v17, v3
	s_delay_alu instid0(VALU_DEP_1) | instskip(NEXT) | instid1(VALU_DEP_1)
	v_mov_b32_dpp v17, v3 row_shr:2 row_mask:0xf bank_mask:0xf
	v_cndmask_b32_e64 v17, 0, v17, s7
	s_delay_alu instid0(VALU_DEP_1) | instskip(NEXT) | instid1(VALU_DEP_1)
	v_add_nc_u32_e32 v3, v3, v17
	v_mov_b32_dpp v17, v3 row_shr:4 row_mask:0xf bank_mask:0xf
	s_delay_alu instid0(VALU_DEP_1) | instskip(NEXT) | instid1(VALU_DEP_1)
	v_cndmask_b32_e64 v17, 0, v17, s11
	v_add_nc_u32_e32 v3, v3, v17
	s_delay_alu instid0(VALU_DEP_1) | instskip(NEXT) | instid1(VALU_DEP_1)
	v_mov_b32_dpp v17, v3 row_shr:8 row_mask:0xf bank_mask:0xf
	v_cndmask_b32_e64 v17, 0, v17, s10
	s_delay_alu instid0(VALU_DEP_1) | instskip(SKIP_3) | instid1(VALU_DEP_1)
	v_add_nc_u32_e32 v3, v3, v17
	ds_swizzle_b32 v17, v3 offset:swizzle(BROADCAST,32,15)
	s_waitcnt lgkmcnt(0)
	v_cndmask_b32_e64 v17, v17, 0, s8
	v_add_nc_u32_e32 v3, v3, v17
	s_and_saveexec_b32 s7, s6
	s_cbranch_execz .LBB16_121
; %bb.120:
	ds_store_b32 v14, v3 offset:5184
.LBB16_121:
	s_or_b32 exec_lo, exec_lo, s7
	s_waitcnt lgkmcnt(0)
	s_barrier
	buffer_gl0_inv
	s_and_saveexec_b32 s6, s2
	s_cbranch_execz .LBB16_123
; %bb.122:
	ds_load_b32 v17, v12 offset:5184
	s_waitcnt lgkmcnt(0)
	v_mov_b32_dpp v18, v17 row_shr:1 row_mask:0xf bank_mask:0xf
	s_delay_alu instid0(VALU_DEP_1) | instskip(NEXT) | instid1(VALU_DEP_1)
	v_cndmask_b32_e64 v18, v18, 0, s5
	v_add_nc_u32_e32 v17, v18, v17
	s_delay_alu instid0(VALU_DEP_1) | instskip(NEXT) | instid1(VALU_DEP_1)
	v_mov_b32_dpp v18, v17 row_shr:2 row_mask:0xf bank_mask:0xf
	v_cndmask_b32_e64 v18, 0, v18, s4
	s_delay_alu instid0(VALU_DEP_1) | instskip(NEXT) | instid1(VALU_DEP_1)
	v_add_nc_u32_e32 v17, v17, v18
	v_mov_b32_dpp v18, v17 row_shr:4 row_mask:0xf bank_mask:0xf
	s_delay_alu instid0(VALU_DEP_1) | instskip(NEXT) | instid1(VALU_DEP_1)
	v_cndmask_b32_e64 v18, 0, v18, s3
	v_add_nc_u32_e32 v17, v17, v18
	ds_store_b32 v12, v17 offset:5184
.LBB16_123:
	s_or_b32 exec_lo, exec_lo, s6
	v_dual_mov_b32 v17, 0 :: v_dual_mov_b32 v18, 0
	s_waitcnt lgkmcnt(0)
	s_barrier
	buffer_gl0_inv
	s_and_saveexec_b32 s2, s1
	s_cbranch_execz .LBB16_125
; %bb.124:
	ds_load_b32 v18, v14 offset:5180
.LBB16_125:
	s_or_b32 exec_lo, exec_lo, s2
	s_waitcnt lgkmcnt(0)
	v_add_nc_u32_e32 v3, v18, v3
	ds_bpermute_b32 v3, v13, v3
	ds_load_b32 v13, v17 offset:5204
	s_waitcnt lgkmcnt(1)
	v_cndmask_b32_e64 v3, v3, v18, s0
	s_waitcnt lgkmcnt(0)
	s_delay_alu instid0(VALU_DEP_1) | instskip(NEXT) | instid1(VALU_DEP_1)
	v_lshl_add_u32 v3, v13, 16, v3
	v_add_nc_u32_e32 v4, v3, v4
	s_delay_alu instid0(VALU_DEP_1) | instskip(NEXT) | instid1(VALU_DEP_1)
	v_add_nc_u32_e32 v5, v4, v5
	v_add_nc_u32_e32 v6, v5, v6
	s_delay_alu instid0(VALU_DEP_1) | instskip(NEXT) | instid1(VALU_DEP_1)
	v_add_nc_u32_e32 v13, v6, v7
	;; [unrolled: 3-line block ×3, first 2 shown]
	v_add_nc_u32_e32 v1, v0, v2
	ds_store_2addr_b64 v11, v[3:4], v[5:6] offset1:1
	ds_store_2addr_b64 v11, v[13:14], v[0:1] offset0:2 offset1:3
	s_waitcnt lgkmcnt(0)
	s_barrier
	buffer_gl0_inv
	ds_load_u16 v0, v15
	v_and_b32_e32 v1, 0xffff, v16
	s_waitcnt lgkmcnt(0)
	s_barrier
	buffer_gl0_inv
	v_lshlrev_b32_e32 v1, 2, v1
	s_delay_alu instid0(VALU_DEP_1)
	v_lshl_add_u32 v0, v0, 2, v1
	ds_store_b32 v0, v8
	s_waitcnt lgkmcnt(0)
	s_barrier
	buffer_gl0_inv
	ds_load_b32 v0, v12
	s_waitcnt lgkmcnt(0)
	global_store_b32 v[9:10], v0, off
	s_nop 0
	s_sendmsg sendmsg(MSG_DEALLOC_VGPRS)
	s_endpgm
	.section	.rodata,"a",@progbits
	.p2align	6, 0x0
	.amdhsa_kernel _Z15sort_key_kernelILj162ELj1ELb1ELb0EjEvPT3_jj
		.amdhsa_group_segment_fixed_size 5216
		.amdhsa_private_segment_fixed_size 0
		.amdhsa_kernarg_size 16
		.amdhsa_user_sgpr_count 15
		.amdhsa_user_sgpr_dispatch_ptr 0
		.amdhsa_user_sgpr_queue_ptr 0
		.amdhsa_user_sgpr_kernarg_segment_ptr 1
		.amdhsa_user_sgpr_dispatch_id 0
		.amdhsa_user_sgpr_private_segment_size 0
		.amdhsa_wavefront_size32 1
		.amdhsa_uses_dynamic_stack 0
		.amdhsa_enable_private_segment 0
		.amdhsa_system_sgpr_workgroup_id_x 1
		.amdhsa_system_sgpr_workgroup_id_y 0
		.amdhsa_system_sgpr_workgroup_id_z 0
		.amdhsa_system_sgpr_workgroup_info 0
		.amdhsa_system_vgpr_workitem_id 0
		.amdhsa_next_free_vgpr 23
		.amdhsa_next_free_sgpr 22
		.amdhsa_reserve_vcc 1
		.amdhsa_float_round_mode_32 0
		.amdhsa_float_round_mode_16_64 0
		.amdhsa_float_denorm_mode_32 3
		.amdhsa_float_denorm_mode_16_64 3
		.amdhsa_dx10_clamp 1
		.amdhsa_ieee_mode 1
		.amdhsa_fp16_overflow 0
		.amdhsa_workgroup_processor_mode 1
		.amdhsa_memory_ordered 1
		.amdhsa_forward_progress 0
		.amdhsa_shared_vgpr_count 0
		.amdhsa_exception_fp_ieee_invalid_op 0
		.amdhsa_exception_fp_denorm_src 0
		.amdhsa_exception_fp_ieee_div_zero 0
		.amdhsa_exception_fp_ieee_overflow 0
		.amdhsa_exception_fp_ieee_underflow 0
		.amdhsa_exception_fp_ieee_inexact 0
		.amdhsa_exception_int_div_zero 0
	.end_amdhsa_kernel
	.section	.text._Z15sort_key_kernelILj162ELj1ELb1ELb0EjEvPT3_jj,"axG",@progbits,_Z15sort_key_kernelILj162ELj1ELb1ELb0EjEvPT3_jj,comdat
.Lfunc_end16:
	.size	_Z15sort_key_kernelILj162ELj1ELb1ELb0EjEvPT3_jj, .Lfunc_end16-_Z15sort_key_kernelILj162ELj1ELb1ELb0EjEvPT3_jj
                                        ; -- End function
	.section	.AMDGPU.csdata,"",@progbits
; Kernel info:
; codeLenInByte = 8160
; NumSgprs: 24
; NumVgprs: 23
; ScratchSize: 0
; MemoryBound: 0
; FloatMode: 240
; IeeeMode: 1
; LDSByteSize: 5216 bytes/workgroup (compile time only)
; SGPRBlocks: 2
; VGPRBlocks: 2
; NumSGPRsForWavesPerEU: 24
; NumVGPRsForWavesPerEU: 23
; Occupancy: 15
; WaveLimiterHint : 0
; COMPUTE_PGM_RSRC2:SCRATCH_EN: 0
; COMPUTE_PGM_RSRC2:USER_SGPR: 15
; COMPUTE_PGM_RSRC2:TRAP_HANDLER: 0
; COMPUTE_PGM_RSRC2:TGID_X_EN: 1
; COMPUTE_PGM_RSRC2:TGID_Y_EN: 0
; COMPUTE_PGM_RSRC2:TGID_Z_EN: 0
; COMPUTE_PGM_RSRC2:TIDIG_COMP_CNT: 0
	.section	.text._Z15sort_key_kernelILj510ELj1ELb0ELb1ExEvPT3_jj,"axG",@progbits,_Z15sort_key_kernelILj510ELj1ELb0ELb1ExEvPT3_jj,comdat
	.protected	_Z15sort_key_kernelILj510ELj1ELb0ELb1ExEvPT3_jj ; -- Begin function _Z15sort_key_kernelILj510ELj1ELb0ELb1ExEvPT3_jj
	.globl	_Z15sort_key_kernelILj510ELj1ELb0ELb1ExEvPT3_jj
	.p2align	8
	.type	_Z15sort_key_kernelILj510ELj1ELb0ELb1ExEvPT3_jj,@function
_Z15sort_key_kernelILj510ELj1ELb0ELb1ExEvPT3_jj: ; @_Z15sort_key_kernelILj510ELj1ELb0ELb1ExEvPT3_jj
; %bb.0:
	s_load_b128 s[16:19], s[0:1], 0x0
	s_mov_b32 s1, 0
	s_mul_i32 s0, s15, 0x1fe
	v_lshlrev_b32_e32 v3, 3, v0
	s_lshl_b64 s[0:1], s[0:1], 3
	v_mbcnt_lo_u32_b32 v4, -1, 0
	v_and_b32_e32 v7, 0x1e0, v0
	v_lshlrev_b32_e32 v15, 5, v0
	v_lshrrev_b32_e32 v9, 3, v0
	v_lshlrev_b32_e32 v20, 2, v0
	v_and_b32_e32 v5, 15, v4
	v_add_nc_u32_e32 v8, -1, v4
	v_and_b32_e32 v6, 16, v4
	v_cmp_eq_u32_e64 s2, 0, v4
	v_mad_i32_i24 v18, 0xffffffe4, v0, v15
	v_cmp_eq_u32_e64 s3, 0, v5
	v_cmp_lt_u32_e64 s4, 1, v5
	v_cmp_lt_u32_e64 s5, 3, v5
	v_cmp_lt_u32_e64 s6, 7, v5
	v_min_u32_e32 v5, 0x1de, v7
	s_waitcnt lgkmcnt(0)
	s_add_u32 s10, s16, s0
	s_addc_u32 s11, s17, s1
	v_cmp_gt_i32_e32 vcc_lo, 0, v8
	global_load_b64 v[1:2], v3, s[10:11]
	v_add_nc_u32_e32 v5, 31, v5
	s_cmp_eq_u32 s18, 0
	v_dual_cndmask_b32 v4, v8, v4 :: v_dual_and_b32 v17, 60, v9
	s_cselect_b32 s12, -1, 0
	s_cmp_eq_u32 s19, 64
	v_add_co_u32 v9, s10, s10, v3
	s_cselect_b32 s13, -1, 0
	v_cmp_gt_u32_e64 s0, 16, v0
	v_cmp_lt_u32_e64 s1, 31, v0
	v_cmp_gt_u32_e64 s9, 0x3fc, v0
	v_cmp_eq_u32_e64 s7, 0, v6
	v_lshlrev_b32_e32 v19, 2, v4
	v_add_nc_u32_e32 v16, v18, v20
	v_cmp_eq_u32_e64 s8, v5, v0
	v_add_co_ci_u32_e64 v10, null, s11, 0, s10
	v_cmp_gt_u32_e64 s10, 0x1fe, v0
	s_and_b32 s12, s12, s13
	s_mov_b32 s11, -1
	s_and_b32 vcc_lo, exec_lo, s12
	s_waitcnt vmcnt(0)
	v_xor_b32_e32 v12, 0x7fffffff, v2
	v_not_b32_e32 v11, v1
	s_cbranch_vccnz .LBB17_15
; %bb.1:
	s_delay_alu instid0(VALU_DEP_1) | instskip(NEXT) | instid1(VALU_DEP_3)
	v_mov_b32_e32 v1, v11
	v_dual_mov_b32 v21, 0 :: v_dual_mov_b32 v2, v12
	s_sub_i32 s11, s19, s18
	s_branch .LBB17_3
.LBB17_2:                               ;   in Loop: Header=BB17_3 Depth=1
	s_barrier
	buffer_gl0_inv
	ds_store_b64 v3, v[13:14]
	s_waitcnt lgkmcnt(0)
	s_barrier
	buffer_gl0_inv
	ds_load_b64 v[1:2], v16
	s_add_i32 s11, s11, -4
	s_waitcnt lgkmcnt(0)
	s_barrier
	buffer_gl0_inv
	s_cbranch_execz .LBB17_14
.LBB17_3:                               ; =>This Inner Loop Header: Depth=1
	s_delay_alu instid0(VALU_DEP_1)
	v_dual_mov_b32 v14, v2 :: v_dual_mov_b32 v13, v1
	ds_store_b32 v20, v21
	ds_store_b32 v20, v21 offset:2040
	ds_store_b32 v20, v21 offset:4080
	;; [unrolled: 1-line block ×5, first 2 shown]
	s_and_saveexec_b32 s12, s9
	s_cbranch_execz .LBB17_6
; %bb.4:                                ;   in Loop: Header=BB17_3 Depth=1
	ds_store_b32 v20, v21 offset:12240
	s_and_b32 exec_lo, exec_lo, s10
	s_cbranch_execz .LBB17_6
; %bb.5:                                ;   in Loop: Header=BB17_3 Depth=1
	ds_store_b32 v20, v21 offset:14280
.LBB17_6:                               ;   in Loop: Header=BB17_3 Depth=1
	s_or_b32 exec_lo, exec_lo, s12
	v_lshrrev_b64 v[1:2], s18, v[13:14]
	s_min_u32 s12, s11, 4
	s_delay_alu instid0(VALU_DEP_1) | instid1(SALU_CYCLE_1)
	v_bfe_u32 v1, v1, 0, s12
	s_delay_alu instid0(VALU_DEP_1) | instskip(SKIP_1) | instid1(VALU_DEP_2)
	v_and_b32_e32 v2, 7, v1
	v_lshrrev_b32_e32 v1, 3, v1
	v_mul_u32_u24_e32 v2, 0x1fe, v2
	s_delay_alu instid0(VALU_DEP_1) | instskip(NEXT) | instid1(VALU_DEP_1)
	v_add_lshl_u32 v2, v2, v0, 1
	v_add_lshl_u32 v22, v2, v1, 1
	ds_load_u16 v23, v22
	s_waitcnt lgkmcnt(0)
	v_add_nc_u16 v1, v23, 1
	ds_store_b16 v22, v1
	s_waitcnt lgkmcnt(0)
	s_barrier
	buffer_gl0_inv
	ds_load_2addr_b64 v[5:8], v15 offset1:1
	ds_load_2addr_b64 v[1:4], v15 offset0:2 offset1:3
	s_waitcnt lgkmcnt(1)
	v_add_nc_u32_e32 v24, v6, v5
	s_delay_alu instid0(VALU_DEP_1) | instskip(SKIP_1) | instid1(VALU_DEP_1)
	v_add3_u32 v24, v24, v7, v8
	s_waitcnt lgkmcnt(0)
	v_add3_u32 v24, v24, v1, v2
	s_delay_alu instid0(VALU_DEP_1) | instskip(NEXT) | instid1(VALU_DEP_1)
	v_add3_u32 v4, v24, v3, v4
	v_mov_b32_dpp v24, v4 row_shr:1 row_mask:0xf bank_mask:0xf
	s_delay_alu instid0(VALU_DEP_1) | instskip(NEXT) | instid1(VALU_DEP_1)
	v_cndmask_b32_e64 v24, v24, 0, s3
	v_add_nc_u32_e32 v4, v24, v4
	s_delay_alu instid0(VALU_DEP_1) | instskip(NEXT) | instid1(VALU_DEP_1)
	v_mov_b32_dpp v24, v4 row_shr:2 row_mask:0xf bank_mask:0xf
	v_cndmask_b32_e64 v24, 0, v24, s4
	s_delay_alu instid0(VALU_DEP_1) | instskip(NEXT) | instid1(VALU_DEP_1)
	v_add_nc_u32_e32 v4, v4, v24
	v_mov_b32_dpp v24, v4 row_shr:4 row_mask:0xf bank_mask:0xf
	s_delay_alu instid0(VALU_DEP_1) | instskip(NEXT) | instid1(VALU_DEP_1)
	v_cndmask_b32_e64 v24, 0, v24, s5
	v_add_nc_u32_e32 v4, v4, v24
	s_delay_alu instid0(VALU_DEP_1) | instskip(NEXT) | instid1(VALU_DEP_1)
	v_mov_b32_dpp v24, v4 row_shr:8 row_mask:0xf bank_mask:0xf
	v_cndmask_b32_e64 v24, 0, v24, s6
	s_delay_alu instid0(VALU_DEP_1) | instskip(SKIP_3) | instid1(VALU_DEP_1)
	v_add_nc_u32_e32 v4, v4, v24
	ds_swizzle_b32 v24, v4 offset:swizzle(BROADCAST,32,15)
	s_waitcnt lgkmcnt(0)
	v_cndmask_b32_e64 v24, v24, 0, s7
	v_add_nc_u32_e32 v4, v4, v24
	s_and_saveexec_b32 s12, s8
	s_cbranch_execz .LBB17_8
; %bb.7:                                ;   in Loop: Header=BB17_3 Depth=1
	ds_store_b32 v17, v4 offset:16320
.LBB17_8:                               ;   in Loop: Header=BB17_3 Depth=1
	s_or_b32 exec_lo, exec_lo, s12
	s_waitcnt lgkmcnt(0)
	s_barrier
	buffer_gl0_inv
	s_and_saveexec_b32 s12, s0
	s_cbranch_execz .LBB17_10
; %bb.9:                                ;   in Loop: Header=BB17_3 Depth=1
	ds_load_b32 v24, v18 offset:16320
	s_waitcnt lgkmcnt(0)
	v_mov_b32_dpp v25, v24 row_shr:1 row_mask:0xf bank_mask:0xf
	s_delay_alu instid0(VALU_DEP_1) | instskip(NEXT) | instid1(VALU_DEP_1)
	v_cndmask_b32_e64 v25, v25, 0, s3
	v_add_nc_u32_e32 v24, v25, v24
	s_delay_alu instid0(VALU_DEP_1) | instskip(NEXT) | instid1(VALU_DEP_1)
	v_mov_b32_dpp v25, v24 row_shr:2 row_mask:0xf bank_mask:0xf
	v_cndmask_b32_e64 v25, 0, v25, s4
	s_delay_alu instid0(VALU_DEP_1) | instskip(NEXT) | instid1(VALU_DEP_1)
	v_add_nc_u32_e32 v24, v24, v25
	v_mov_b32_dpp v25, v24 row_shr:4 row_mask:0xf bank_mask:0xf
	s_delay_alu instid0(VALU_DEP_1) | instskip(NEXT) | instid1(VALU_DEP_1)
	v_cndmask_b32_e64 v25, 0, v25, s5
	v_add_nc_u32_e32 v24, v24, v25
	s_delay_alu instid0(VALU_DEP_1) | instskip(NEXT) | instid1(VALU_DEP_1)
	v_mov_b32_dpp v25, v24 row_shr:8 row_mask:0xf bank_mask:0xf
	v_cndmask_b32_e64 v25, 0, v25, s6
	s_delay_alu instid0(VALU_DEP_1)
	v_add_nc_u32_e32 v24, v24, v25
	ds_store_b32 v18, v24 offset:16320
.LBB17_10:                              ;   in Loop: Header=BB17_3 Depth=1
	s_or_b32 exec_lo, exec_lo, s12
	v_mov_b32_e32 v24, 0
	s_waitcnt lgkmcnt(0)
	s_barrier
	buffer_gl0_inv
	s_and_saveexec_b32 s12, s1
	s_cbranch_execz .LBB17_12
; %bb.11:                               ;   in Loop: Header=BB17_3 Depth=1
	ds_load_b32 v24, v17 offset:16316
.LBB17_12:                              ;   in Loop: Header=BB17_3 Depth=1
	s_or_b32 exec_lo, exec_lo, s12
	s_waitcnt lgkmcnt(0)
	v_add_nc_u32_e32 v4, v24, v4
	ds_load_b32 v25, v21 offset:16380
	s_add_i32 s18, s18, 4
	s_delay_alu instid0(SALU_CYCLE_1) | instskip(SKIP_3) | instid1(VALU_DEP_1)
	s_cmp_ge_u32 s18, s19
	ds_bpermute_b32 v4, v19, v4
	s_waitcnt lgkmcnt(0)
	v_cndmask_b32_e64 v4, v4, v24, s2
	v_lshl_add_u32 v4, v25, 16, v4
	s_delay_alu instid0(VALU_DEP_1) | instskip(NEXT) | instid1(VALU_DEP_1)
	v_add_nc_u32_e32 v5, v4, v5
	v_add_nc_u32_e32 v6, v5, v6
	s_delay_alu instid0(VALU_DEP_1) | instskip(NEXT) | instid1(VALU_DEP_1)
	v_add_nc_u32_e32 v7, v6, v7
	v_add_nc_u32_e32 v24, v7, v8
	;; [unrolled: 3-line block ×3, first 2 shown]
	s_delay_alu instid0(VALU_DEP_1)
	v_add_nc_u32_e32 v2, v1, v3
	ds_store_2addr_b64 v15, v[4:5], v[6:7] offset1:1
	ds_store_2addr_b64 v15, v[24:25], v[1:2] offset0:2 offset1:3
	s_waitcnt lgkmcnt(0)
	s_barrier
	buffer_gl0_inv
	ds_load_u16 v1, v22
	v_and_b32_e32 v2, 0xffff, v23
	s_waitcnt lgkmcnt(0)
	s_delay_alu instid0(VALU_DEP_1) | instskip(NEXT) | instid1(VALU_DEP_1)
	v_lshlrev_b32_e32 v2, 3, v2
	v_lshl_add_u32 v3, v1, 3, v2
	s_cbranch_scc0 .LBB17_2
; %bb.13:
                                        ; implicit-def: $vgpr1_vgpr2
                                        ; implicit-def: $sgpr11
.LBB17_14:
	s_mov_b32 s11, 0
	s_barrier
	buffer_gl0_inv
	ds_store_b64 v3, v[13:14]
	s_waitcnt lgkmcnt(0)
	s_barrier
.LBB17_15:
	s_and_b32 vcc_lo, exec_lo, s11
	s_cbranch_vccz .LBB17_30
; %bb.16:
	v_sub_nc_u32_e32 v1, 0, v20
	v_cmp_gt_u32_e64 s9, 0x3fc, v0
	v_cmp_gt_u32_e64 s10, 0x1fe, v0
	s_mov_b64 s[12:13], 0
	s_delay_alu instid0(VALU_DEP_3)
	v_dual_mov_b32 v21, 0 :: v_dual_add_nc_u32 v20, v16, v1
	s_branch .LBB17_18
.LBB17_17:                              ;   in Loop: Header=BB17_18 Depth=1
	s_delay_alu instid0(VALU_DEP_1)
	v_lshlrev_b32_e32 v2, 3, v1
	s_barrier
	buffer_gl0_inv
	s_add_u32 s12, s12, 4
	ds_store_b64 v2, v[13:14]
	s_waitcnt lgkmcnt(0)
	s_barrier
	buffer_gl0_inv
	ds_load_b64 v[11:12], v16
	s_addc_u32 s13, s13, 0
	s_waitcnt lgkmcnt(0)
	s_barrier
	buffer_gl0_inv
	s_cbranch_execz .LBB17_29
.LBB17_18:                              ; =>This Inner Loop Header: Depth=1
	v_dual_mov_b32 v14, v12 :: v_dual_mov_b32 v13, v11
	ds_store_b32 v20, v21
	ds_store_b32 v20, v21 offset:2040
	ds_store_b32 v20, v21 offset:4080
	;; [unrolled: 1-line block ×5, first 2 shown]
	s_and_saveexec_b32 s11, s9
	s_cbranch_execz .LBB17_21
; %bb.19:                               ;   in Loop: Header=BB17_18 Depth=1
	ds_store_b32 v20, v21 offset:12240
	s_and_b32 exec_lo, exec_lo, s10
	s_cbranch_execz .LBB17_21
; %bb.20:                               ;   in Loop: Header=BB17_18 Depth=1
	ds_store_b32 v20, v21 offset:14280
.LBB17_21:                              ;   in Loop: Header=BB17_18 Depth=1
	s_or_b32 exec_lo, exec_lo, s11
	v_lshrrev_b64 v[1:2], s12, v[13:14]
	s_delay_alu instid0(VALU_DEP_1) | instskip(SKIP_1) | instid1(VALU_DEP_2)
	v_and_b32_e32 v2, 7, v1
	v_lshrrev_b32_e32 v1, 2, v1
	v_mad_u32_u24 v2, 0x1fe, v2, v0
	s_delay_alu instid0(VALU_DEP_2) | instskip(NEXT) | instid1(VALU_DEP_1)
	v_and_b32_e32 v1, 2, v1
	v_lshl_or_b32 v11, v2, 2, v1
	ds_load_u16 v12, v11
	s_waitcnt lgkmcnt(0)
	v_add_nc_u16 v1, v12, 1
	ds_store_b16 v11, v1
	s_waitcnt lgkmcnt(0)
	s_barrier
	buffer_gl0_inv
	ds_load_2addr_b64 v[5:8], v15 offset1:1
	ds_load_2addr_b64 v[1:4], v15 offset0:2 offset1:3
	s_waitcnt lgkmcnt(1)
	v_add_nc_u32_e32 v22, v6, v5
	s_delay_alu instid0(VALU_DEP_1) | instskip(SKIP_1) | instid1(VALU_DEP_1)
	v_add3_u32 v22, v22, v7, v8
	s_waitcnt lgkmcnt(0)
	v_add3_u32 v22, v22, v1, v2
	s_delay_alu instid0(VALU_DEP_1) | instskip(NEXT) | instid1(VALU_DEP_1)
	v_add3_u32 v4, v22, v3, v4
	v_mov_b32_dpp v22, v4 row_shr:1 row_mask:0xf bank_mask:0xf
	s_delay_alu instid0(VALU_DEP_1) | instskip(NEXT) | instid1(VALU_DEP_1)
	v_cndmask_b32_e64 v22, v22, 0, s3
	v_add_nc_u32_e32 v4, v22, v4
	s_delay_alu instid0(VALU_DEP_1) | instskip(NEXT) | instid1(VALU_DEP_1)
	v_mov_b32_dpp v22, v4 row_shr:2 row_mask:0xf bank_mask:0xf
	v_cndmask_b32_e64 v22, 0, v22, s4
	s_delay_alu instid0(VALU_DEP_1) | instskip(NEXT) | instid1(VALU_DEP_1)
	v_add_nc_u32_e32 v4, v4, v22
	v_mov_b32_dpp v22, v4 row_shr:4 row_mask:0xf bank_mask:0xf
	s_delay_alu instid0(VALU_DEP_1) | instskip(NEXT) | instid1(VALU_DEP_1)
	v_cndmask_b32_e64 v22, 0, v22, s5
	v_add_nc_u32_e32 v4, v4, v22
	s_delay_alu instid0(VALU_DEP_1) | instskip(NEXT) | instid1(VALU_DEP_1)
	v_mov_b32_dpp v22, v4 row_shr:8 row_mask:0xf bank_mask:0xf
	v_cndmask_b32_e64 v22, 0, v22, s6
	s_delay_alu instid0(VALU_DEP_1) | instskip(SKIP_3) | instid1(VALU_DEP_1)
	v_add_nc_u32_e32 v4, v4, v22
	ds_swizzle_b32 v22, v4 offset:swizzle(BROADCAST,32,15)
	s_waitcnt lgkmcnt(0)
	v_cndmask_b32_e64 v22, v22, 0, s7
	v_add_nc_u32_e32 v4, v4, v22
	s_and_saveexec_b32 s11, s8
	s_cbranch_execz .LBB17_23
; %bb.22:                               ;   in Loop: Header=BB17_18 Depth=1
	ds_store_b32 v17, v4 offset:16320
.LBB17_23:                              ;   in Loop: Header=BB17_18 Depth=1
	s_or_b32 exec_lo, exec_lo, s11
	s_waitcnt lgkmcnt(0)
	s_barrier
	buffer_gl0_inv
	s_and_saveexec_b32 s11, s0
	s_cbranch_execz .LBB17_25
; %bb.24:                               ;   in Loop: Header=BB17_18 Depth=1
	ds_load_b32 v22, v18 offset:16320
	s_waitcnt lgkmcnt(0)
	v_mov_b32_dpp v23, v22 row_shr:1 row_mask:0xf bank_mask:0xf
	s_delay_alu instid0(VALU_DEP_1) | instskip(NEXT) | instid1(VALU_DEP_1)
	v_cndmask_b32_e64 v23, v23, 0, s3
	v_add_nc_u32_e32 v22, v23, v22
	s_delay_alu instid0(VALU_DEP_1) | instskip(NEXT) | instid1(VALU_DEP_1)
	v_mov_b32_dpp v23, v22 row_shr:2 row_mask:0xf bank_mask:0xf
	v_cndmask_b32_e64 v23, 0, v23, s4
	s_delay_alu instid0(VALU_DEP_1) | instskip(NEXT) | instid1(VALU_DEP_1)
	v_add_nc_u32_e32 v22, v22, v23
	v_mov_b32_dpp v23, v22 row_shr:4 row_mask:0xf bank_mask:0xf
	s_delay_alu instid0(VALU_DEP_1) | instskip(NEXT) | instid1(VALU_DEP_1)
	v_cndmask_b32_e64 v23, 0, v23, s5
	v_add_nc_u32_e32 v22, v22, v23
	s_delay_alu instid0(VALU_DEP_1) | instskip(NEXT) | instid1(VALU_DEP_1)
	v_mov_b32_dpp v23, v22 row_shr:8 row_mask:0xf bank_mask:0xf
	v_cndmask_b32_e64 v23, 0, v23, s6
	s_delay_alu instid0(VALU_DEP_1)
	v_add_nc_u32_e32 v22, v22, v23
	ds_store_b32 v18, v22 offset:16320
.LBB17_25:                              ;   in Loop: Header=BB17_18 Depth=1
	s_or_b32 exec_lo, exec_lo, s11
	v_mov_b32_e32 v22, 0
	s_waitcnt lgkmcnt(0)
	s_barrier
	buffer_gl0_inv
	s_and_saveexec_b32 s11, s1
	s_cbranch_execz .LBB17_27
; %bb.26:                               ;   in Loop: Header=BB17_18 Depth=1
	ds_load_b32 v22, v17 offset:16316
.LBB17_27:                              ;   in Loop: Header=BB17_18 Depth=1
	s_or_b32 exec_lo, exec_lo, s11
	s_waitcnt lgkmcnt(0)
	v_add_nc_u32_e32 v4, v22, v4
	ds_load_b32 v23, v21 offset:16380
	s_cmp_gt_u32 s12, 59
	ds_bpermute_b32 v4, v19, v4
	s_waitcnt lgkmcnt(0)
	v_cndmask_b32_e64 v4, v4, v22, s2
	s_delay_alu instid0(VALU_DEP_1) | instskip(NEXT) | instid1(VALU_DEP_1)
	v_lshl_add_u32 v4, v23, 16, v4
	v_add_nc_u32_e32 v5, v4, v5
	s_delay_alu instid0(VALU_DEP_1) | instskip(NEXT) | instid1(VALU_DEP_1)
	v_add_nc_u32_e32 v6, v5, v6
	v_add_nc_u32_e32 v7, v6, v7
	s_delay_alu instid0(VALU_DEP_1) | instskip(NEXT) | instid1(VALU_DEP_1)
	v_add_nc_u32_e32 v22, v7, v8
	;; [unrolled: 3-line block ×3, first 2 shown]
	v_add_nc_u32_e32 v2, v1, v3
	ds_store_2addr_b64 v15, v[4:5], v[6:7] offset1:1
	ds_store_2addr_b64 v15, v[22:23], v[1:2] offset0:2 offset1:3
	s_waitcnt lgkmcnt(0)
	s_barrier
	buffer_gl0_inv
	ds_load_u16 v1, v11
	v_and_b32_e32 v2, 0xffff, v12
	s_waitcnt lgkmcnt(0)
	s_delay_alu instid0(VALU_DEP_1)
	v_add_nc_u32_e32 v1, v1, v2
	s_cbranch_scc0 .LBB17_17
; %bb.28:
                                        ; implicit-def: $vgpr11_vgpr12
                                        ; implicit-def: $sgpr12_sgpr13
.LBB17_29:
	s_delay_alu instid0(VALU_DEP_1)
	v_lshlrev_b32_e32 v0, 3, v1
	s_barrier
	buffer_gl0_inv
	ds_store_b64 v0, v[13:14]
	s_waitcnt lgkmcnt(0)
	s_barrier
.LBB17_30:
	buffer_gl0_inv
	ds_load_b64 v[0:1], v16
	s_waitcnt lgkmcnt(0)
	v_xor_b32_e32 v1, 0x7fffffff, v1
	v_not_b32_e32 v0, v0
	global_store_b64 v[9:10], v[0:1], off
	s_nop 0
	s_sendmsg sendmsg(MSG_DEALLOC_VGPRS)
	s_endpgm
	.section	.rodata,"a",@progbits
	.p2align	6, 0x0
	.amdhsa_kernel _Z15sort_key_kernelILj510ELj1ELb0ELb1ExEvPT3_jj
		.amdhsa_group_segment_fixed_size 16384
		.amdhsa_private_segment_fixed_size 0
		.amdhsa_kernarg_size 16
		.amdhsa_user_sgpr_count 15
		.amdhsa_user_sgpr_dispatch_ptr 0
		.amdhsa_user_sgpr_queue_ptr 0
		.amdhsa_user_sgpr_kernarg_segment_ptr 1
		.amdhsa_user_sgpr_dispatch_id 0
		.amdhsa_user_sgpr_private_segment_size 0
		.amdhsa_wavefront_size32 1
		.amdhsa_uses_dynamic_stack 0
		.amdhsa_enable_private_segment 0
		.amdhsa_system_sgpr_workgroup_id_x 1
		.amdhsa_system_sgpr_workgroup_id_y 0
		.amdhsa_system_sgpr_workgroup_id_z 0
		.amdhsa_system_sgpr_workgroup_info 0
		.amdhsa_system_vgpr_workitem_id 0
		.amdhsa_next_free_vgpr 26
		.amdhsa_next_free_sgpr 20
		.amdhsa_reserve_vcc 1
		.amdhsa_float_round_mode_32 0
		.amdhsa_float_round_mode_16_64 0
		.amdhsa_float_denorm_mode_32 3
		.amdhsa_float_denorm_mode_16_64 3
		.amdhsa_dx10_clamp 1
		.amdhsa_ieee_mode 1
		.amdhsa_fp16_overflow 0
		.amdhsa_workgroup_processor_mode 1
		.amdhsa_memory_ordered 1
		.amdhsa_forward_progress 0
		.amdhsa_shared_vgpr_count 0
		.amdhsa_exception_fp_ieee_invalid_op 0
		.amdhsa_exception_fp_denorm_src 0
		.amdhsa_exception_fp_ieee_div_zero 0
		.amdhsa_exception_fp_ieee_overflow 0
		.amdhsa_exception_fp_ieee_underflow 0
		.amdhsa_exception_fp_ieee_inexact 0
		.amdhsa_exception_int_div_zero 0
	.end_amdhsa_kernel
	.section	.text._Z15sort_key_kernelILj510ELj1ELb0ELb1ExEvPT3_jj,"axG",@progbits,_Z15sort_key_kernelILj510ELj1ELb0ELb1ExEvPT3_jj,comdat
.Lfunc_end17:
	.size	_Z15sort_key_kernelILj510ELj1ELb0ELb1ExEvPT3_jj, .Lfunc_end17-_Z15sort_key_kernelILj510ELj1ELb0ELb1ExEvPT3_jj
                                        ; -- End function
	.section	.AMDGPU.csdata,"",@progbits
; Kernel info:
; codeLenInByte = 2156
; NumSgprs: 22
; NumVgprs: 26
; ScratchSize: 0
; MemoryBound: 0
; FloatMode: 240
; IeeeMode: 1
; LDSByteSize: 16384 bytes/workgroup (compile time only)
; SGPRBlocks: 2
; VGPRBlocks: 3
; NumSGPRsForWavesPerEU: 22
; NumVGPRsForWavesPerEU: 26
; Occupancy: 16
; WaveLimiterHint : 0
; COMPUTE_PGM_RSRC2:SCRATCH_EN: 0
; COMPUTE_PGM_RSRC2:USER_SGPR: 15
; COMPUTE_PGM_RSRC2:TRAP_HANDLER: 0
; COMPUTE_PGM_RSRC2:TGID_X_EN: 1
; COMPUTE_PGM_RSRC2:TGID_Y_EN: 0
; COMPUTE_PGM_RSRC2:TGID_Z_EN: 0
; COMPUTE_PGM_RSRC2:TIDIG_COMP_CNT: 0
	.section	.text._Z15sort_key_kernelILj37ELj1ELb0ELb0E6__halfEvPT3_jj,"axG",@progbits,_Z15sort_key_kernelILj37ELj1ELb0ELb0E6__halfEvPT3_jj,comdat
	.protected	_Z15sort_key_kernelILj37ELj1ELb0ELb0E6__halfEvPT3_jj ; -- Begin function _Z15sort_key_kernelILj37ELj1ELb0ELb0E6__halfEvPT3_jj
	.globl	_Z15sort_key_kernelILj37ELj1ELb0ELb0E6__halfEvPT3_jj
	.p2align	8
	.type	_Z15sort_key_kernelILj37ELj1ELb0ELb0E6__halfEvPT3_jj,@function
_Z15sort_key_kernelILj37ELj1ELb0ELb0E6__halfEvPT3_jj: ; @_Z15sort_key_kernelILj37ELj1ELb0ELb0E6__halfEvPT3_jj
; %bb.0:
	s_load_b128 s[16:19], s[0:1], 0x0
	s_mov_b32 s1, 0
	s_mul_i32 s0, s15, 37
	v_lshlrev_b32_e32 v18, 1, v0
	s_lshl_b64 s[0:1], s[0:1], 1
	v_mbcnt_lo_u32_b32 v2, -1, 0
	v_and_b32_e32 v5, 32, v0
	v_lshrrev_b32_e32 v7, 3, v0
	v_cmp_gt_u32_e64 s10, 0x128, v0
	v_cmp_gt_u32_e64 s2, 2, v0
	v_add_nc_u32_e32 v6, -1, v2
	v_and_b32_e32 v3, 15, v2
	v_and_b32_e32 v4, 16, v2
	v_and_b32_e32 v8, 1, v2
	v_lshlrev_b32_e32 v16, 2, v0
	v_cmp_gt_i32_e32 vcc_lo, 0, v6
	v_lshlrev_b32_e32 v11, 5, v0
	v_cmp_eq_u32_e64 s8, 0, v3
	v_cmp_lt_u32_e64 s7, 1, v3
	v_cmp_lt_u32_e64 s6, 3, v3
	s_waitcnt lgkmcnt(0)
	s_add_u32 s12, s16, s0
	s_addc_u32 s13, s17, s1
	v_cmp_eq_u32_e64 s0, 0, v2
	v_cndmask_b32_e32 v2, v6, v2, vcc_lo
	global_load_u16 v1, v18, s[12:13]
	v_cmp_lt_u32_e64 s5, 7, v3
	v_min_u32_e32 v3, 5, v5
	s_cmp_eq_u32 s18, 0
	v_mad_i32_i24 v15, 0xffffffe4, v0, v11
	s_cselect_b32 s11, -1, 0
	s_cmp_eq_u32 s19, 16
	v_add_nc_u32_e32 v3, 31, v3
	v_lshlrev_b32_e32 v13, 2, v2
	s_cselect_b32 s14, -1, 0
	v_add_co_u32 v9, s12, s12, v18
	s_and_b32 s11, s11, s14
	v_cmp_lt_u32_e64 s1, 31, v0
	v_cmp_eq_u32_e64 s4, 0, v4
	v_and_b32_e32 v14, 4, v7
	v_cmp_eq_u32_e64 s3, 0, v8
	v_sub_nc_u32_e32 v12, v15, v18
	v_cmp_eq_u32_e64 s9, v3, v0
	v_add_co_ci_u32_e64 v10, null, s13, 0, s12
	s_mov_b32 s12, -1
	s_waitcnt vmcnt(0)
	v_cmp_lt_i16_e32 vcc_lo, -1, v1
	v_cndmask_b32_e64 v2, -1, 0xffff8000, vcc_lo
	s_and_b32 vcc_lo, exec_lo, s11
	v_cmp_gt_u32_e64 s11, 0x103, v0
	s_delay_alu instid0(VALU_DEP_2)
	v_xor_b32_e32 v17, v2, v1
	s_cbranch_vccnz .LBB18_21
; %bb.1:
	v_cmp_gt_u32_e64 s12, 0xde, v0
	v_cmp_gt_u32_e64 s13, 0xb9, v0
	;; [unrolled: 1-line block ×6, first 2 shown]
	v_dual_mov_b32 v19, 0 :: v_dual_mov_b32 v2, v17
	s_sub_i32 s20, s19, s18
	s_branch .LBB18_3
.LBB18_2:                               ;   in Loop: Header=BB18_3 Depth=1
	s_barrier
	buffer_gl0_inv
	ds_store_b16 v1, v20
	s_waitcnt lgkmcnt(0)
	s_barrier
	buffer_gl0_inv
	ds_load_u16 v2, v12
	s_add_i32 s20, s20, -4
	s_waitcnt lgkmcnt(0)
	s_barrier
	buffer_gl0_inv
	s_cbranch_execz .LBB18_20
.LBB18_3:                               ; =>This Inner Loop Header: Depth=1
	s_delay_alu instid0(VALU_DEP_1)
	v_mov_b32_e32 v20, v2
	s_and_saveexec_b32 s21, s10
	s_cbranch_execz .LBB18_12
; %bb.4:                                ;   in Loop: Header=BB18_3 Depth=1
	ds_store_b32 v16, v19
	s_and_b32 exec_lo, exec_lo, s11
	s_cbranch_execz .LBB18_12
; %bb.5:                                ;   in Loop: Header=BB18_3 Depth=1
	ds_store_b32 v16, v19 offset:148
	s_and_b32 exec_lo, exec_lo, s12
	s_cbranch_execz .LBB18_12
; %bb.6:                                ;   in Loop: Header=BB18_3 Depth=1
	ds_store_b32 v16, v19 offset:296
	;; [unrolled: 4-line block ×5, first 2 shown]
	s_and_b32 exec_lo, exec_lo, s16
	s_cbranch_execz .LBB18_12
; %bb.10:                               ;   in Loop: Header=BB18_3 Depth=1
	ds_store_b32 v16, v19 offset:888
	s_and_b32 exec_lo, exec_lo, s17
	s_cbranch_execz .LBB18_12
; %bb.11:                               ;   in Loop: Header=BB18_3 Depth=1
	ds_store_b32 v16, v19 offset:1036
.LBB18_12:                              ;   in Loop: Header=BB18_3 Depth=1
	s_or_b32 exec_lo, exec_lo, s21
	s_delay_alu instid0(VALU_DEP_1) | instskip(SKIP_2) | instid1(VALU_DEP_1)
	v_cmp_ne_u16_e32 vcc_lo, 0x7fff, v20
	s_min_u32 s21, s20, 4
	v_cndmask_b32_e32 v1, 0xffff8000, v20, vcc_lo
	v_and_b32_e32 v1, 0xffff, v1
	s_delay_alu instid0(VALU_DEP_1) | instskip(NEXT) | instid1(VALU_DEP_1)
	v_lshrrev_b32_e32 v1, s18, v1
	v_bfe_u32 v1, v1, 0, s21
	s_delay_alu instid0(VALU_DEP_1) | instskip(SKIP_1) | instid1(VALU_DEP_2)
	v_and_b32_e32 v2, 7, v1
	v_lshrrev_b32_e32 v1, 3, v1
	v_mul_u32_u24_e32 v2, 37, v2
	s_delay_alu instid0(VALU_DEP_1) | instskip(NEXT) | instid1(VALU_DEP_1)
	v_add_lshl_u32 v2, v2, v0, 1
	v_add_lshl_u32 v21, v2, v1, 1
	ds_load_u16 v22, v21
	s_waitcnt lgkmcnt(0)
	v_add_nc_u16 v1, v22, 1
	ds_store_b16 v21, v1
	s_waitcnt lgkmcnt(0)
	s_barrier
	buffer_gl0_inv
	ds_load_2addr_b64 v[5:8], v11 offset1:1
	ds_load_2addr_b64 v[1:4], v11 offset0:2 offset1:3
	s_waitcnt lgkmcnt(1)
	v_add_nc_u32_e32 v23, v6, v5
	s_delay_alu instid0(VALU_DEP_1) | instskip(SKIP_1) | instid1(VALU_DEP_1)
	v_add3_u32 v23, v23, v7, v8
	s_waitcnt lgkmcnt(0)
	v_add3_u32 v23, v23, v1, v2
	s_delay_alu instid0(VALU_DEP_1) | instskip(NEXT) | instid1(VALU_DEP_1)
	v_add3_u32 v4, v23, v3, v4
	v_mov_b32_dpp v23, v4 row_shr:1 row_mask:0xf bank_mask:0xf
	s_delay_alu instid0(VALU_DEP_1) | instskip(NEXT) | instid1(VALU_DEP_1)
	v_cndmask_b32_e64 v23, v23, 0, s8
	v_add_nc_u32_e32 v4, v23, v4
	s_delay_alu instid0(VALU_DEP_1) | instskip(NEXT) | instid1(VALU_DEP_1)
	v_mov_b32_dpp v23, v4 row_shr:2 row_mask:0xf bank_mask:0xf
	v_cndmask_b32_e64 v23, 0, v23, s7
	s_delay_alu instid0(VALU_DEP_1) | instskip(NEXT) | instid1(VALU_DEP_1)
	v_add_nc_u32_e32 v4, v4, v23
	v_mov_b32_dpp v23, v4 row_shr:4 row_mask:0xf bank_mask:0xf
	s_delay_alu instid0(VALU_DEP_1) | instskip(NEXT) | instid1(VALU_DEP_1)
	v_cndmask_b32_e64 v23, 0, v23, s6
	v_add_nc_u32_e32 v4, v4, v23
	s_delay_alu instid0(VALU_DEP_1) | instskip(NEXT) | instid1(VALU_DEP_1)
	v_mov_b32_dpp v23, v4 row_shr:8 row_mask:0xf bank_mask:0xf
	v_cndmask_b32_e64 v23, 0, v23, s5
	s_delay_alu instid0(VALU_DEP_1) | instskip(SKIP_3) | instid1(VALU_DEP_1)
	v_add_nc_u32_e32 v4, v4, v23
	ds_swizzle_b32 v23, v4 offset:swizzle(BROADCAST,32,15)
	s_waitcnt lgkmcnt(0)
	v_cndmask_b32_e64 v23, v23, 0, s4
	v_add_nc_u32_e32 v4, v4, v23
	s_and_saveexec_b32 s21, s9
	s_cbranch_execz .LBB18_14
; %bb.13:                               ;   in Loop: Header=BB18_3 Depth=1
	ds_store_b32 v14, v4 offset:1184
.LBB18_14:                              ;   in Loop: Header=BB18_3 Depth=1
	s_or_b32 exec_lo, exec_lo, s21
	s_waitcnt lgkmcnt(0)
	s_barrier
	buffer_gl0_inv
	s_and_saveexec_b32 s21, s2
	s_cbranch_execz .LBB18_16
; %bb.15:                               ;   in Loop: Header=BB18_3 Depth=1
	ds_load_b32 v23, v15 offset:1184
	s_waitcnt lgkmcnt(0)
	v_mov_b32_dpp v24, v23 row_shr:1 row_mask:0xf bank_mask:0xf
	s_delay_alu instid0(VALU_DEP_1) | instskip(NEXT) | instid1(VALU_DEP_1)
	v_cndmask_b32_e64 v24, v24, 0, s3
	v_add_nc_u32_e32 v23, v24, v23
	ds_store_b32 v15, v23 offset:1184
.LBB18_16:                              ;   in Loop: Header=BB18_3 Depth=1
	s_or_b32 exec_lo, exec_lo, s21
	v_mov_b32_e32 v23, 0
	s_waitcnt lgkmcnt(0)
	s_barrier
	buffer_gl0_inv
	s_and_saveexec_b32 s21, s1
	s_cbranch_execz .LBB18_18
; %bb.17:                               ;   in Loop: Header=BB18_3 Depth=1
	ds_load_b32 v23, v14 offset:1180
.LBB18_18:                              ;   in Loop: Header=BB18_3 Depth=1
	s_or_b32 exec_lo, exec_lo, s21
	s_waitcnt lgkmcnt(0)
	v_add_nc_u32_e32 v4, v23, v4
	ds_load_b32 v24, v19 offset:1188
	s_add_i32 s18, s18, 4
	s_delay_alu instid0(SALU_CYCLE_1) | instskip(SKIP_3) | instid1(VALU_DEP_1)
	s_cmp_ge_u32 s18, s19
	ds_bpermute_b32 v4, v13, v4
	s_waitcnt lgkmcnt(0)
	v_cndmask_b32_e64 v4, v4, v23, s0
	v_lshl_add_u32 v4, v24, 16, v4
	s_delay_alu instid0(VALU_DEP_1) | instskip(NEXT) | instid1(VALU_DEP_1)
	v_add_nc_u32_e32 v5, v4, v5
	v_add_nc_u32_e32 v6, v5, v6
	s_delay_alu instid0(VALU_DEP_1) | instskip(NEXT) | instid1(VALU_DEP_1)
	v_add_nc_u32_e32 v7, v6, v7
	v_add_nc_u32_e32 v23, v7, v8
	;; [unrolled: 3-line block ×3, first 2 shown]
	s_delay_alu instid0(VALU_DEP_1)
	v_add_nc_u32_e32 v2, v1, v3
	ds_store_2addr_b64 v11, v[4:5], v[6:7] offset1:1
	ds_store_2addr_b64 v11, v[23:24], v[1:2] offset0:2 offset1:3
	s_waitcnt lgkmcnt(0)
	s_barrier
	buffer_gl0_inv
	ds_load_u16 v1, v21
	v_and_b32_e32 v2, 0xffff, v22
	s_waitcnt lgkmcnt(0)
	s_delay_alu instid0(VALU_DEP_1) | instskip(NEXT) | instid1(VALU_DEP_1)
	v_lshlrev_b32_e32 v2, 1, v2
	v_lshl_add_u32 v1, v1, 1, v2
	s_cbranch_scc0 .LBB18_2
; %bb.19:
                                        ; implicit-def: $vgpr2
                                        ; implicit-def: $sgpr20
.LBB18_20:
	s_mov_b32 s12, 0
	s_barrier
	buffer_gl0_inv
	ds_store_b16 v1, v20
	s_waitcnt lgkmcnt(0)
	s_barrier
.LBB18_21:
	s_and_b32 vcc_lo, exec_lo, s12
	s_cbranch_vccz .LBB18_83
; %bb.22:
	s_and_saveexec_b32 s11, s10
	s_cbranch_execz .LBB18_31
; %bb.23:
	v_dual_mov_b32 v2, 0 :: v_dual_add_nc_u32 v1, v12, v18
	v_cmp_gt_u32_e32 vcc_lo, 0x103, v0
	ds_store_b32 v1, v2
	s_and_b32 exec_lo, exec_lo, vcc_lo
	s_cbranch_execz .LBB18_31
; %bb.24:
	v_cmp_gt_u32_e32 vcc_lo, 0xde, v0
	ds_store_b32 v1, v2 offset:148
	s_and_b32 exec_lo, exec_lo, vcc_lo
	s_cbranch_execz .LBB18_31
; %bb.25:
	v_mov_b32_e32 v2, 0
	v_cmp_gt_u32_e32 vcc_lo, 0xb9, v0
	ds_store_b32 v1, v2 offset:296
	s_and_b32 exec_lo, exec_lo, vcc_lo
	s_cbranch_execz .LBB18_31
; %bb.26:
	v_cmp_gt_u32_e32 vcc_lo, 0x94, v0
	ds_store_b32 v1, v2 offset:444
	s_and_b32 exec_lo, exec_lo, vcc_lo
	s_cbranch_execz .LBB18_31
; %bb.27:
	v_mov_b32_e32 v2, 0
	v_cmp_gt_u32_e32 vcc_lo, 0x6f, v0
	ds_store_b32 v1, v2 offset:592
	;; [unrolled: 11-line block ×3, first 2 shown]
	s_and_b32 exec_lo, exec_lo, vcc_lo
	s_cbranch_execz .LBB18_31
; %bb.30:
	ds_store_b32 v1, v2 offset:1036
.LBB18_31:
	s_or_b32 exec_lo, exec_lo, s11
	v_cmp_ne_u16_e32 vcc_lo, 0x7fff, v17
	v_cndmask_b32_e32 v1, 0xffff8000, v17, vcc_lo
	s_delay_alu instid0(VALU_DEP_1) | instskip(NEXT) | instid1(VALU_DEP_1)
	v_and_b32_e32 v1, 0xffff, v1
	v_and_b32_e32 v2, 7, v1
	v_lshrrev_b32_e32 v1, 2, v1
	s_delay_alu instid0(VALU_DEP_2) | instskip(NEXT) | instid1(VALU_DEP_2)
	v_mad_u32_u24 v2, v2, 37, v0
	v_and_b32_e32 v1, 2, v1
	s_delay_alu instid0(VALU_DEP_1)
	v_lshl_or_b32 v18, v2, 2, v1
	ds_load_u16 v19, v18
	s_waitcnt lgkmcnt(0)
	v_add_nc_u16 v1, v19, 1
	ds_store_b16 v18, v1
	s_waitcnt lgkmcnt(0)
	s_barrier
	buffer_gl0_inv
	ds_load_2addr_b64 v[5:8], v11 offset1:1
	ds_load_2addr_b64 v[1:4], v11 offset0:2 offset1:3
	s_waitcnt lgkmcnt(1)
	v_add_nc_u32_e32 v20, v6, v5
	s_delay_alu instid0(VALU_DEP_1) | instskip(SKIP_1) | instid1(VALU_DEP_1)
	v_add3_u32 v20, v20, v7, v8
	s_waitcnt lgkmcnt(0)
	v_add3_u32 v20, v20, v1, v2
	s_delay_alu instid0(VALU_DEP_1) | instskip(NEXT) | instid1(VALU_DEP_1)
	v_add3_u32 v4, v20, v3, v4
	v_mov_b32_dpp v20, v4 row_shr:1 row_mask:0xf bank_mask:0xf
	s_delay_alu instid0(VALU_DEP_1) | instskip(NEXT) | instid1(VALU_DEP_1)
	v_cndmask_b32_e64 v20, v20, 0, s8
	v_add_nc_u32_e32 v4, v20, v4
	s_delay_alu instid0(VALU_DEP_1) | instskip(NEXT) | instid1(VALU_DEP_1)
	v_mov_b32_dpp v20, v4 row_shr:2 row_mask:0xf bank_mask:0xf
	v_cndmask_b32_e64 v20, 0, v20, s7
	s_delay_alu instid0(VALU_DEP_1) | instskip(NEXT) | instid1(VALU_DEP_1)
	v_add_nc_u32_e32 v4, v4, v20
	v_mov_b32_dpp v20, v4 row_shr:4 row_mask:0xf bank_mask:0xf
	s_delay_alu instid0(VALU_DEP_1) | instskip(NEXT) | instid1(VALU_DEP_1)
	v_cndmask_b32_e64 v20, 0, v20, s6
	v_add_nc_u32_e32 v4, v4, v20
	s_delay_alu instid0(VALU_DEP_1) | instskip(NEXT) | instid1(VALU_DEP_1)
	v_mov_b32_dpp v20, v4 row_shr:8 row_mask:0xf bank_mask:0xf
	v_cndmask_b32_e64 v20, 0, v20, s5
	s_delay_alu instid0(VALU_DEP_1) | instskip(SKIP_3) | instid1(VALU_DEP_1)
	v_add_nc_u32_e32 v4, v4, v20
	ds_swizzle_b32 v20, v4 offset:swizzle(BROADCAST,32,15)
	s_waitcnt lgkmcnt(0)
	v_cndmask_b32_e64 v20, v20, 0, s4
	v_add_nc_u32_e32 v4, v4, v20
	s_and_saveexec_b32 s11, s9
	s_cbranch_execz .LBB18_33
; %bb.32:
	ds_store_b32 v14, v4 offset:1184
.LBB18_33:
	s_or_b32 exec_lo, exec_lo, s11
	s_waitcnt lgkmcnt(0)
	s_barrier
	buffer_gl0_inv
	s_and_saveexec_b32 s11, s2
	s_cbranch_execz .LBB18_35
; %bb.34:
	ds_load_b32 v20, v15 offset:1184
	s_waitcnt lgkmcnt(0)
	v_mov_b32_dpp v21, v20 row_shr:1 row_mask:0xf bank_mask:0xf
	s_delay_alu instid0(VALU_DEP_1) | instskip(NEXT) | instid1(VALU_DEP_1)
	v_cndmask_b32_e64 v21, v21, 0, s3
	v_add_nc_u32_e32 v20, v21, v20
	ds_store_b32 v15, v20 offset:1184
.LBB18_35:
	s_or_b32 exec_lo, exec_lo, s11
	v_dual_mov_b32 v20, 0 :: v_dual_mov_b32 v21, 0
	s_waitcnt lgkmcnt(0)
	s_barrier
	buffer_gl0_inv
	s_and_saveexec_b32 s11, s1
	s_cbranch_execz .LBB18_37
; %bb.36:
	ds_load_b32 v21, v14 offset:1180
.LBB18_37:
	s_or_b32 exec_lo, exec_lo, s11
	s_waitcnt lgkmcnt(0)
	v_add_nc_u32_e32 v4, v21, v4
	ds_load_b32 v20, v20 offset:1188
	ds_bpermute_b32 v4, v13, v4
	s_waitcnt lgkmcnt(0)
	v_cndmask_b32_e64 v4, v4, v21, s0
	s_delay_alu instid0(VALU_DEP_1) | instskip(NEXT) | instid1(VALU_DEP_1)
	v_lshl_add_u32 v4, v20, 16, v4
	v_add_nc_u32_e32 v5, v4, v5
	s_delay_alu instid0(VALU_DEP_1) | instskip(NEXT) | instid1(VALU_DEP_1)
	v_add_nc_u32_e32 v6, v5, v6
	v_add_nc_u32_e32 v7, v6, v7
	s_delay_alu instid0(VALU_DEP_1) | instskip(NEXT) | instid1(VALU_DEP_1)
	v_add_nc_u32_e32 v20, v7, v8
	;; [unrolled: 3-line block ×3, first 2 shown]
	v_add_nc_u32_e32 v2, v1, v3
	ds_store_2addr_b64 v11, v[4:5], v[6:7] offset1:1
	ds_store_2addr_b64 v11, v[20:21], v[1:2] offset0:2 offset1:3
	s_waitcnt lgkmcnt(0)
	s_barrier
	buffer_gl0_inv
	ds_load_u16 v1, v18
	v_and_b32_e32 v2, 0xffff, v19
	s_waitcnt lgkmcnt(0)
	s_barrier
	buffer_gl0_inv
	v_lshlrev_b32_e32 v2, 1, v2
	s_delay_alu instid0(VALU_DEP_1)
	v_lshl_add_u32 v1, v1, 1, v2
	ds_store_b16 v1, v17
	s_waitcnt lgkmcnt(0)
	s_barrier
	buffer_gl0_inv
	ds_load_u16 v17, v12
	s_waitcnt lgkmcnt(0)
	s_barrier
	buffer_gl0_inv
	s_and_saveexec_b32 s11, s10
	s_cbranch_execz .LBB18_46
; %bb.38:
	v_mov_b32_e32 v1, 0
	v_cmp_gt_u32_e32 vcc_lo, 0x103, v0
	ds_store_b32 v16, v1
	s_and_b32 exec_lo, exec_lo, vcc_lo
	s_cbranch_execz .LBB18_46
; %bb.39:
	v_cmp_gt_u32_e32 vcc_lo, 0xde, v0
	ds_store_b32 v16, v1 offset:148
	s_and_b32 exec_lo, exec_lo, vcc_lo
	s_cbranch_execz .LBB18_46
; %bb.40:
	v_mov_b32_e32 v1, 0
	v_cmp_gt_u32_e32 vcc_lo, 0xb9, v0
	ds_store_b32 v16, v1 offset:296
	s_and_b32 exec_lo, exec_lo, vcc_lo
	s_cbranch_execz .LBB18_46
; %bb.41:
	v_cmp_gt_u32_e32 vcc_lo, 0x94, v0
	ds_store_b32 v16, v1 offset:444
	s_and_b32 exec_lo, exec_lo, vcc_lo
	s_cbranch_execz .LBB18_46
; %bb.42:
	v_mov_b32_e32 v1, 0
	v_cmp_gt_u32_e32 vcc_lo, 0x6f, v0
	ds_store_b32 v16, v1 offset:592
	;; [unrolled: 11-line block ×3, first 2 shown]
	s_and_b32 exec_lo, exec_lo, vcc_lo
	s_cbranch_execz .LBB18_46
; %bb.45:
	ds_store_b32 v16, v1 offset:1036
.LBB18_46:
	s_or_b32 exec_lo, exec_lo, s11
	v_lshrrev_b16 v1, 4, v17
	v_cmp_ne_u16_e32 vcc_lo, 0x7fff, v17
	s_delay_alu instid0(VALU_DEP_2) | instskip(NEXT) | instid1(VALU_DEP_1)
	v_cndmask_b32_e32 v1, 0x800, v1, vcc_lo
	v_and_b32_e32 v1, 0xffff, v1
	s_delay_alu instid0(VALU_DEP_1) | instskip(SKIP_1) | instid1(VALU_DEP_2)
	v_and_b32_e32 v2, 7, v1
	v_lshrrev_b32_e32 v1, 2, v1
	v_mad_u32_u24 v2, v2, 37, v0
	s_delay_alu instid0(VALU_DEP_2) | instskip(NEXT) | instid1(VALU_DEP_1)
	v_and_b32_e32 v1, 2, v1
	v_lshl_or_b32 v18, v2, 2, v1
	ds_load_u16 v19, v18
	s_waitcnt lgkmcnt(0)
	v_add_nc_u16 v1, v19, 1
	ds_store_b16 v18, v1
	s_waitcnt lgkmcnt(0)
	s_barrier
	buffer_gl0_inv
	ds_load_2addr_b64 v[5:8], v11 offset1:1
	ds_load_2addr_b64 v[1:4], v11 offset0:2 offset1:3
	s_waitcnt lgkmcnt(1)
	v_add_nc_u32_e32 v20, v6, v5
	s_delay_alu instid0(VALU_DEP_1) | instskip(SKIP_1) | instid1(VALU_DEP_1)
	v_add3_u32 v20, v20, v7, v8
	s_waitcnt lgkmcnt(0)
	v_add3_u32 v20, v20, v1, v2
	s_delay_alu instid0(VALU_DEP_1) | instskip(NEXT) | instid1(VALU_DEP_1)
	v_add3_u32 v4, v20, v3, v4
	v_mov_b32_dpp v20, v4 row_shr:1 row_mask:0xf bank_mask:0xf
	s_delay_alu instid0(VALU_DEP_1) | instskip(NEXT) | instid1(VALU_DEP_1)
	v_cndmask_b32_e64 v20, v20, 0, s8
	v_add_nc_u32_e32 v4, v20, v4
	s_delay_alu instid0(VALU_DEP_1) | instskip(NEXT) | instid1(VALU_DEP_1)
	v_mov_b32_dpp v20, v4 row_shr:2 row_mask:0xf bank_mask:0xf
	v_cndmask_b32_e64 v20, 0, v20, s7
	s_delay_alu instid0(VALU_DEP_1) | instskip(NEXT) | instid1(VALU_DEP_1)
	v_add_nc_u32_e32 v4, v4, v20
	v_mov_b32_dpp v20, v4 row_shr:4 row_mask:0xf bank_mask:0xf
	s_delay_alu instid0(VALU_DEP_1) | instskip(NEXT) | instid1(VALU_DEP_1)
	v_cndmask_b32_e64 v20, 0, v20, s6
	v_add_nc_u32_e32 v4, v4, v20
	s_delay_alu instid0(VALU_DEP_1) | instskip(NEXT) | instid1(VALU_DEP_1)
	v_mov_b32_dpp v20, v4 row_shr:8 row_mask:0xf bank_mask:0xf
	v_cndmask_b32_e64 v20, 0, v20, s5
	s_delay_alu instid0(VALU_DEP_1) | instskip(SKIP_3) | instid1(VALU_DEP_1)
	v_add_nc_u32_e32 v4, v4, v20
	ds_swizzle_b32 v20, v4 offset:swizzle(BROADCAST,32,15)
	s_waitcnt lgkmcnt(0)
	v_cndmask_b32_e64 v20, v20, 0, s4
	v_add_nc_u32_e32 v4, v4, v20
	s_and_saveexec_b32 s11, s9
	s_cbranch_execz .LBB18_48
; %bb.47:
	ds_store_b32 v14, v4 offset:1184
.LBB18_48:
	s_or_b32 exec_lo, exec_lo, s11
	s_waitcnt lgkmcnt(0)
	s_barrier
	buffer_gl0_inv
	s_and_saveexec_b32 s11, s2
	s_cbranch_execz .LBB18_50
; %bb.49:
	ds_load_b32 v20, v15 offset:1184
	s_waitcnt lgkmcnt(0)
	v_mov_b32_dpp v21, v20 row_shr:1 row_mask:0xf bank_mask:0xf
	s_delay_alu instid0(VALU_DEP_1) | instskip(NEXT) | instid1(VALU_DEP_1)
	v_cndmask_b32_e64 v21, v21, 0, s3
	v_add_nc_u32_e32 v20, v21, v20
	ds_store_b32 v15, v20 offset:1184
.LBB18_50:
	s_or_b32 exec_lo, exec_lo, s11
	v_dual_mov_b32 v20, 0 :: v_dual_mov_b32 v21, 0
	s_waitcnt lgkmcnt(0)
	s_barrier
	buffer_gl0_inv
	s_and_saveexec_b32 s11, s1
	s_cbranch_execz .LBB18_52
; %bb.51:
	ds_load_b32 v21, v14 offset:1180
.LBB18_52:
	s_or_b32 exec_lo, exec_lo, s11
	s_waitcnt lgkmcnt(0)
	v_add_nc_u32_e32 v4, v21, v4
	ds_load_b32 v20, v20 offset:1188
	ds_bpermute_b32 v4, v13, v4
	s_waitcnt lgkmcnt(0)
	v_cndmask_b32_e64 v4, v4, v21, s0
	s_delay_alu instid0(VALU_DEP_1) | instskip(NEXT) | instid1(VALU_DEP_1)
	v_lshl_add_u32 v4, v20, 16, v4
	v_add_nc_u32_e32 v5, v4, v5
	s_delay_alu instid0(VALU_DEP_1) | instskip(NEXT) | instid1(VALU_DEP_1)
	v_add_nc_u32_e32 v6, v5, v6
	v_add_nc_u32_e32 v7, v6, v7
	s_delay_alu instid0(VALU_DEP_1) | instskip(NEXT) | instid1(VALU_DEP_1)
	v_add_nc_u32_e32 v20, v7, v8
	;; [unrolled: 3-line block ×3, first 2 shown]
	v_add_nc_u32_e32 v2, v1, v3
	ds_store_2addr_b64 v11, v[4:5], v[6:7] offset1:1
	ds_store_2addr_b64 v11, v[20:21], v[1:2] offset0:2 offset1:3
	s_waitcnt lgkmcnt(0)
	s_barrier
	buffer_gl0_inv
	ds_load_u16 v1, v18
	v_and_b32_e32 v2, 0xffff, v19
	s_waitcnt lgkmcnt(0)
	s_barrier
	buffer_gl0_inv
	v_lshlrev_b32_e32 v2, 1, v2
	s_delay_alu instid0(VALU_DEP_1)
	v_lshl_add_u32 v1, v1, 1, v2
	ds_store_b16 v1, v17
	s_waitcnt lgkmcnt(0)
	s_barrier
	buffer_gl0_inv
	ds_load_u16 v17, v12
	s_waitcnt lgkmcnt(0)
	s_barrier
	buffer_gl0_inv
	s_and_saveexec_b32 s11, s10
	s_cbranch_execz .LBB18_61
; %bb.53:
	v_mov_b32_e32 v1, 0
	v_cmp_gt_u32_e32 vcc_lo, 0x103, v0
	ds_store_b32 v16, v1
	s_and_b32 exec_lo, exec_lo, vcc_lo
	s_cbranch_execz .LBB18_61
; %bb.54:
	v_cmp_gt_u32_e32 vcc_lo, 0xde, v0
	ds_store_b32 v16, v1 offset:148
	s_and_b32 exec_lo, exec_lo, vcc_lo
	s_cbranch_execz .LBB18_61
; %bb.55:
	v_mov_b32_e32 v1, 0
	v_cmp_gt_u32_e32 vcc_lo, 0xb9, v0
	ds_store_b32 v16, v1 offset:296
	s_and_b32 exec_lo, exec_lo, vcc_lo
	s_cbranch_execz .LBB18_61
; %bb.56:
	v_cmp_gt_u32_e32 vcc_lo, 0x94, v0
	ds_store_b32 v16, v1 offset:444
	s_and_b32 exec_lo, exec_lo, vcc_lo
	s_cbranch_execz .LBB18_61
; %bb.57:
	v_mov_b32_e32 v1, 0
	v_cmp_gt_u32_e32 vcc_lo, 0x6f, v0
	ds_store_b32 v16, v1 offset:592
	;; [unrolled: 11-line block ×3, first 2 shown]
	s_and_b32 exec_lo, exec_lo, vcc_lo
	s_cbranch_execz .LBB18_61
; %bb.60:
	ds_store_b32 v16, v1 offset:1036
.LBB18_61:
	s_or_b32 exec_lo, exec_lo, s11
	v_lshrrev_b16 v1, 8, v17
	v_cmp_ne_u16_e32 vcc_lo, 0x7fff, v17
	s_delay_alu instid0(VALU_DEP_2) | instskip(NEXT) | instid1(VALU_DEP_1)
	v_cndmask_b32_e32 v1, 0x80, v1, vcc_lo
	v_and_b32_e32 v1, 0xffff, v1
	s_delay_alu instid0(VALU_DEP_1) | instskip(SKIP_1) | instid1(VALU_DEP_2)
	v_and_b32_e32 v2, 7, v1
	v_lshrrev_b32_e32 v1, 2, v1
	v_mad_u32_u24 v2, v2, 37, v0
	s_delay_alu instid0(VALU_DEP_2) | instskip(NEXT) | instid1(VALU_DEP_1)
	v_and_b32_e32 v1, 2, v1
	v_lshl_or_b32 v18, v2, 2, v1
	ds_load_u16 v19, v18
	s_waitcnt lgkmcnt(0)
	v_add_nc_u16 v1, v19, 1
	ds_store_b16 v18, v1
	s_waitcnt lgkmcnt(0)
	s_barrier
	buffer_gl0_inv
	ds_load_2addr_b64 v[5:8], v11 offset1:1
	ds_load_2addr_b64 v[1:4], v11 offset0:2 offset1:3
	s_waitcnt lgkmcnt(1)
	v_add_nc_u32_e32 v20, v6, v5
	s_delay_alu instid0(VALU_DEP_1) | instskip(SKIP_1) | instid1(VALU_DEP_1)
	v_add3_u32 v20, v20, v7, v8
	s_waitcnt lgkmcnt(0)
	v_add3_u32 v20, v20, v1, v2
	s_delay_alu instid0(VALU_DEP_1) | instskip(NEXT) | instid1(VALU_DEP_1)
	v_add3_u32 v4, v20, v3, v4
	v_mov_b32_dpp v20, v4 row_shr:1 row_mask:0xf bank_mask:0xf
	s_delay_alu instid0(VALU_DEP_1) | instskip(NEXT) | instid1(VALU_DEP_1)
	v_cndmask_b32_e64 v20, v20, 0, s8
	v_add_nc_u32_e32 v4, v20, v4
	s_delay_alu instid0(VALU_DEP_1) | instskip(NEXT) | instid1(VALU_DEP_1)
	v_mov_b32_dpp v20, v4 row_shr:2 row_mask:0xf bank_mask:0xf
	v_cndmask_b32_e64 v20, 0, v20, s7
	s_delay_alu instid0(VALU_DEP_1) | instskip(NEXT) | instid1(VALU_DEP_1)
	v_add_nc_u32_e32 v4, v4, v20
	v_mov_b32_dpp v20, v4 row_shr:4 row_mask:0xf bank_mask:0xf
	s_delay_alu instid0(VALU_DEP_1) | instskip(NEXT) | instid1(VALU_DEP_1)
	v_cndmask_b32_e64 v20, 0, v20, s6
	v_add_nc_u32_e32 v4, v4, v20
	s_delay_alu instid0(VALU_DEP_1) | instskip(NEXT) | instid1(VALU_DEP_1)
	v_mov_b32_dpp v20, v4 row_shr:8 row_mask:0xf bank_mask:0xf
	v_cndmask_b32_e64 v20, 0, v20, s5
	s_delay_alu instid0(VALU_DEP_1) | instskip(SKIP_3) | instid1(VALU_DEP_1)
	v_add_nc_u32_e32 v4, v4, v20
	ds_swizzle_b32 v20, v4 offset:swizzle(BROADCAST,32,15)
	s_waitcnt lgkmcnt(0)
	v_cndmask_b32_e64 v20, v20, 0, s4
	v_add_nc_u32_e32 v4, v4, v20
	s_and_saveexec_b32 s11, s9
	s_cbranch_execz .LBB18_63
; %bb.62:
	ds_store_b32 v14, v4 offset:1184
.LBB18_63:
	s_or_b32 exec_lo, exec_lo, s11
	s_waitcnt lgkmcnt(0)
	s_barrier
	buffer_gl0_inv
	s_and_saveexec_b32 s11, s2
	s_cbranch_execz .LBB18_65
; %bb.64:
	ds_load_b32 v20, v15 offset:1184
	s_waitcnt lgkmcnt(0)
	v_mov_b32_dpp v21, v20 row_shr:1 row_mask:0xf bank_mask:0xf
	s_delay_alu instid0(VALU_DEP_1) | instskip(NEXT) | instid1(VALU_DEP_1)
	v_cndmask_b32_e64 v21, v21, 0, s3
	v_add_nc_u32_e32 v20, v21, v20
	ds_store_b32 v15, v20 offset:1184
.LBB18_65:
	s_or_b32 exec_lo, exec_lo, s11
	v_dual_mov_b32 v20, 0 :: v_dual_mov_b32 v21, 0
	s_waitcnt lgkmcnt(0)
	s_barrier
	buffer_gl0_inv
	s_and_saveexec_b32 s11, s1
	s_cbranch_execz .LBB18_67
; %bb.66:
	ds_load_b32 v21, v14 offset:1180
.LBB18_67:
	s_or_b32 exec_lo, exec_lo, s11
	s_waitcnt lgkmcnt(0)
	v_add_nc_u32_e32 v4, v21, v4
	ds_load_b32 v20, v20 offset:1188
	ds_bpermute_b32 v4, v13, v4
	s_waitcnt lgkmcnt(0)
	v_cndmask_b32_e64 v4, v4, v21, s0
	s_delay_alu instid0(VALU_DEP_1) | instskip(NEXT) | instid1(VALU_DEP_1)
	v_lshl_add_u32 v4, v20, 16, v4
	v_add_nc_u32_e32 v5, v4, v5
	s_delay_alu instid0(VALU_DEP_1) | instskip(NEXT) | instid1(VALU_DEP_1)
	v_add_nc_u32_e32 v6, v5, v6
	v_add_nc_u32_e32 v7, v6, v7
	s_delay_alu instid0(VALU_DEP_1) | instskip(NEXT) | instid1(VALU_DEP_1)
	v_add_nc_u32_e32 v20, v7, v8
	v_add_nc_u32_e32 v21, v20, v1
	s_delay_alu instid0(VALU_DEP_1) | instskip(NEXT) | instid1(VALU_DEP_1)
	v_add_nc_u32_e32 v1, v21, v2
	v_add_nc_u32_e32 v2, v1, v3
	ds_store_2addr_b64 v11, v[4:5], v[6:7] offset1:1
	ds_store_2addr_b64 v11, v[20:21], v[1:2] offset0:2 offset1:3
	s_waitcnt lgkmcnt(0)
	s_barrier
	buffer_gl0_inv
	ds_load_u16 v1, v18
	v_and_b32_e32 v2, 0xffff, v19
	s_waitcnt lgkmcnt(0)
	s_barrier
	buffer_gl0_inv
	v_lshlrev_b32_e32 v2, 1, v2
	s_delay_alu instid0(VALU_DEP_1)
	v_lshl_add_u32 v1, v1, 1, v2
	ds_store_b16 v1, v17
	s_waitcnt lgkmcnt(0)
	s_barrier
	buffer_gl0_inv
	ds_load_u16 v8, v12
	s_waitcnt lgkmcnt(0)
	s_barrier
	buffer_gl0_inv
	s_and_saveexec_b32 s11, s10
	s_cbranch_execz .LBB18_76
; %bb.68:
	v_mov_b32_e32 v1, 0
	v_cmp_gt_u32_e32 vcc_lo, 0x103, v0
	ds_store_b32 v16, v1
	s_and_b32 exec_lo, exec_lo, vcc_lo
	s_cbranch_execz .LBB18_76
; %bb.69:
	v_cmp_gt_u32_e32 vcc_lo, 0xde, v0
	ds_store_b32 v16, v1 offset:148
	s_and_b32 exec_lo, exec_lo, vcc_lo
	s_cbranch_execz .LBB18_76
; %bb.70:
	v_mov_b32_e32 v1, 0
	v_cmp_gt_u32_e32 vcc_lo, 0xb9, v0
	ds_store_b32 v16, v1 offset:296
	s_and_b32 exec_lo, exec_lo, vcc_lo
	s_cbranch_execz .LBB18_76
; %bb.71:
	v_cmp_gt_u32_e32 vcc_lo, 0x94, v0
	ds_store_b32 v16, v1 offset:444
	s_and_b32 exec_lo, exec_lo, vcc_lo
	s_cbranch_execz .LBB18_76
; %bb.72:
	v_mov_b32_e32 v1, 0
	v_cmp_gt_u32_e32 vcc_lo, 0x6f, v0
	ds_store_b32 v16, v1 offset:592
	;; [unrolled: 11-line block ×3, first 2 shown]
	s_and_b32 exec_lo, exec_lo, vcc_lo
	s_cbranch_execz .LBB18_76
; %bb.75:
	ds_store_b32 v16, v1 offset:1036
.LBB18_76:
	s_or_b32 exec_lo, exec_lo, s11
	v_lshrrev_b16 v1, 12, v8
	v_cmp_ne_u16_e32 vcc_lo, 0x7fff, v8
	s_delay_alu instid0(VALU_DEP_2) | instskip(NEXT) | instid1(VALU_DEP_1)
	v_cndmask_b32_e32 v1, 8, v1, vcc_lo
	v_and_b32_e32 v1, 0xffff, v1
	s_delay_alu instid0(VALU_DEP_1) | instskip(SKIP_1) | instid1(VALU_DEP_2)
	v_and_b32_e32 v2, 7, v1
	v_lshrrev_b32_e32 v1, 2, v1
	v_mad_u32_u24 v0, v2, 37, v0
	s_delay_alu instid0(VALU_DEP_2) | instskip(NEXT) | instid1(VALU_DEP_1)
	v_and_b32_e32 v1, 2, v1
	v_lshl_or_b32 v16, v0, 2, v1
	ds_load_u16 v17, v16
	s_waitcnt lgkmcnt(0)
	v_add_nc_u16 v0, v17, 1
	ds_store_b16 v16, v0
	s_waitcnt lgkmcnt(0)
	s_barrier
	buffer_gl0_inv
	ds_load_2addr_b64 v[4:7], v11 offset1:1
	ds_load_2addr_b64 v[0:3], v11 offset0:2 offset1:3
	s_waitcnt lgkmcnt(1)
	v_add_nc_u32_e32 v18, v5, v4
	s_delay_alu instid0(VALU_DEP_1) | instskip(SKIP_1) | instid1(VALU_DEP_1)
	v_add3_u32 v18, v18, v6, v7
	s_waitcnt lgkmcnt(0)
	v_add3_u32 v18, v18, v0, v1
	s_delay_alu instid0(VALU_DEP_1) | instskip(NEXT) | instid1(VALU_DEP_1)
	v_add3_u32 v3, v18, v2, v3
	v_mov_b32_dpp v18, v3 row_shr:1 row_mask:0xf bank_mask:0xf
	s_delay_alu instid0(VALU_DEP_1) | instskip(NEXT) | instid1(VALU_DEP_1)
	v_cndmask_b32_e64 v18, v18, 0, s8
	v_add_nc_u32_e32 v3, v18, v3
	s_delay_alu instid0(VALU_DEP_1) | instskip(NEXT) | instid1(VALU_DEP_1)
	v_mov_b32_dpp v18, v3 row_shr:2 row_mask:0xf bank_mask:0xf
	v_cndmask_b32_e64 v18, 0, v18, s7
	s_delay_alu instid0(VALU_DEP_1) | instskip(NEXT) | instid1(VALU_DEP_1)
	v_add_nc_u32_e32 v3, v3, v18
	v_mov_b32_dpp v18, v3 row_shr:4 row_mask:0xf bank_mask:0xf
	s_delay_alu instid0(VALU_DEP_1) | instskip(NEXT) | instid1(VALU_DEP_1)
	v_cndmask_b32_e64 v18, 0, v18, s6
	v_add_nc_u32_e32 v3, v3, v18
	s_delay_alu instid0(VALU_DEP_1) | instskip(NEXT) | instid1(VALU_DEP_1)
	v_mov_b32_dpp v18, v3 row_shr:8 row_mask:0xf bank_mask:0xf
	v_cndmask_b32_e64 v18, 0, v18, s5
	s_delay_alu instid0(VALU_DEP_1) | instskip(SKIP_3) | instid1(VALU_DEP_1)
	v_add_nc_u32_e32 v3, v3, v18
	ds_swizzle_b32 v18, v3 offset:swizzle(BROADCAST,32,15)
	s_waitcnt lgkmcnt(0)
	v_cndmask_b32_e64 v18, v18, 0, s4
	v_add_nc_u32_e32 v3, v3, v18
	s_and_saveexec_b32 s4, s9
	s_cbranch_execz .LBB18_78
; %bb.77:
	ds_store_b32 v14, v3 offset:1184
.LBB18_78:
	s_or_b32 exec_lo, exec_lo, s4
	s_waitcnt lgkmcnt(0)
	s_barrier
	buffer_gl0_inv
	s_and_saveexec_b32 s4, s2
	s_cbranch_execz .LBB18_80
; %bb.79:
	ds_load_b32 v18, v15 offset:1184
	s_waitcnt lgkmcnt(0)
	v_mov_b32_dpp v19, v18 row_shr:1 row_mask:0xf bank_mask:0xf
	s_delay_alu instid0(VALU_DEP_1) | instskip(NEXT) | instid1(VALU_DEP_1)
	v_cndmask_b32_e64 v19, v19, 0, s3
	v_add_nc_u32_e32 v18, v19, v18
	ds_store_b32 v15, v18 offset:1184
.LBB18_80:
	s_or_b32 exec_lo, exec_lo, s4
	v_dual_mov_b32 v15, 0 :: v_dual_mov_b32 v18, 0
	s_waitcnt lgkmcnt(0)
	s_barrier
	buffer_gl0_inv
	s_and_saveexec_b32 s2, s1
	s_cbranch_execz .LBB18_82
; %bb.81:
	ds_load_b32 v18, v14 offset:1180
.LBB18_82:
	s_or_b32 exec_lo, exec_lo, s2
	s_waitcnt lgkmcnt(0)
	v_add_nc_u32_e32 v3, v18, v3
	ds_bpermute_b32 v3, v13, v3
	ds_load_b32 v13, v15 offset:1188
	s_waitcnt lgkmcnt(1)
	v_cndmask_b32_e64 v3, v3, v18, s0
	s_waitcnt lgkmcnt(0)
	s_delay_alu instid0(VALU_DEP_1) | instskip(NEXT) | instid1(VALU_DEP_1)
	v_lshl_add_u32 v3, v13, 16, v3
	v_add_nc_u32_e32 v4, v3, v4
	s_delay_alu instid0(VALU_DEP_1) | instskip(NEXT) | instid1(VALU_DEP_1)
	v_add_nc_u32_e32 v5, v4, v5
	v_add_nc_u32_e32 v6, v5, v6
	s_delay_alu instid0(VALU_DEP_1) | instskip(NEXT) | instid1(VALU_DEP_1)
	v_add_nc_u32_e32 v13, v6, v7
	;; [unrolled: 3-line block ×3, first 2 shown]
	v_add_nc_u32_e32 v1, v0, v2
	ds_store_2addr_b64 v11, v[3:4], v[5:6] offset1:1
	ds_store_2addr_b64 v11, v[13:14], v[0:1] offset0:2 offset1:3
	s_waitcnt lgkmcnt(0)
	s_barrier
	buffer_gl0_inv
	ds_load_u16 v0, v16
	v_and_b32_e32 v1, 0xffff, v17
	s_waitcnt lgkmcnt(0)
	s_barrier
	buffer_gl0_inv
	v_lshlrev_b32_e32 v1, 1, v1
	s_delay_alu instid0(VALU_DEP_1)
	v_lshl_add_u32 v0, v0, 1, v1
	ds_store_b16 v0, v8
	s_waitcnt lgkmcnt(0)
	s_barrier
.LBB18_83:
	buffer_gl0_inv
	ds_load_u16 v0, v12
	s_waitcnt lgkmcnt(0)
	v_cmp_lt_i16_e32 vcc_lo, -1, v0
	v_cndmask_b32_e64 v1, 0xffff8000, -1, vcc_lo
	s_delay_alu instid0(VALU_DEP_1)
	v_xor_b32_e32 v0, v1, v0
	global_store_b16 v[9:10], v0, off
	s_nop 0
	s_sendmsg sendmsg(MSG_DEALLOC_VGPRS)
	s_endpgm
	.section	.rodata,"a",@progbits
	.p2align	6, 0x0
	.amdhsa_kernel _Z15sort_key_kernelILj37ELj1ELb0ELb0E6__halfEvPT3_jj
		.amdhsa_group_segment_fixed_size 1200
		.amdhsa_private_segment_fixed_size 0
		.amdhsa_kernarg_size 16
		.amdhsa_user_sgpr_count 15
		.amdhsa_user_sgpr_dispatch_ptr 0
		.amdhsa_user_sgpr_queue_ptr 0
		.amdhsa_user_sgpr_kernarg_segment_ptr 1
		.amdhsa_user_sgpr_dispatch_id 0
		.amdhsa_user_sgpr_private_segment_size 0
		.amdhsa_wavefront_size32 1
		.amdhsa_uses_dynamic_stack 0
		.amdhsa_enable_private_segment 0
		.amdhsa_system_sgpr_workgroup_id_x 1
		.amdhsa_system_sgpr_workgroup_id_y 0
		.amdhsa_system_sgpr_workgroup_id_z 0
		.amdhsa_system_sgpr_workgroup_info 0
		.amdhsa_system_vgpr_workitem_id 0
		.amdhsa_next_free_vgpr 25
		.amdhsa_next_free_sgpr 22
		.amdhsa_reserve_vcc 1
		.amdhsa_float_round_mode_32 0
		.amdhsa_float_round_mode_16_64 0
		.amdhsa_float_denorm_mode_32 3
		.amdhsa_float_denorm_mode_16_64 3
		.amdhsa_dx10_clamp 1
		.amdhsa_ieee_mode 1
		.amdhsa_fp16_overflow 0
		.amdhsa_workgroup_processor_mode 1
		.amdhsa_memory_ordered 1
		.amdhsa_forward_progress 0
		.amdhsa_shared_vgpr_count 0
		.amdhsa_exception_fp_ieee_invalid_op 0
		.amdhsa_exception_fp_denorm_src 0
		.amdhsa_exception_fp_ieee_div_zero 0
		.amdhsa_exception_fp_ieee_overflow 0
		.amdhsa_exception_fp_ieee_underflow 0
		.amdhsa_exception_fp_ieee_inexact 0
		.amdhsa_exception_int_div_zero 0
	.end_amdhsa_kernel
	.section	.text._Z15sort_key_kernelILj37ELj1ELb0ELb0E6__halfEvPT3_jj,"axG",@progbits,_Z15sort_key_kernelILj37ELj1ELb0ELb0E6__halfEvPT3_jj,comdat
.Lfunc_end18:
	.size	_Z15sort_key_kernelILj37ELj1ELb0ELb0E6__halfEvPT3_jj, .Lfunc_end18-_Z15sort_key_kernelILj37ELj1ELb0ELb0E6__halfEvPT3_jj
                                        ; -- End function
	.section	.AMDGPU.csdata,"",@progbits
; Kernel info:
; codeLenInByte = 4708
; NumSgprs: 24
; NumVgprs: 25
; ScratchSize: 0
; MemoryBound: 0
; FloatMode: 240
; IeeeMode: 1
; LDSByteSize: 1200 bytes/workgroup (compile time only)
; SGPRBlocks: 2
; VGPRBlocks: 3
; NumSGPRsForWavesPerEU: 24
; NumVGPRsForWavesPerEU: 25
; Occupancy: 16
; WaveLimiterHint : 0
; COMPUTE_PGM_RSRC2:SCRATCH_EN: 0
; COMPUTE_PGM_RSRC2:USER_SGPR: 15
; COMPUTE_PGM_RSRC2:TRAP_HANDLER: 0
; COMPUTE_PGM_RSRC2:TGID_X_EN: 1
; COMPUTE_PGM_RSRC2:TGID_Y_EN: 0
; COMPUTE_PGM_RSRC2:TGID_Z_EN: 0
; COMPUTE_PGM_RSRC2:TIDIG_COMP_CNT: 0
	.section	.text._Z15sort_key_kernelILj37ELj1ELb0ELb0E12hip_bfloat16EvPT3_jj,"axG",@progbits,_Z15sort_key_kernelILj37ELj1ELb0ELb0E12hip_bfloat16EvPT3_jj,comdat
	.protected	_Z15sort_key_kernelILj37ELj1ELb0ELb0E12hip_bfloat16EvPT3_jj ; -- Begin function _Z15sort_key_kernelILj37ELj1ELb0ELb0E12hip_bfloat16EvPT3_jj
	.globl	_Z15sort_key_kernelILj37ELj1ELb0ELb0E12hip_bfloat16EvPT3_jj
	.p2align	8
	.type	_Z15sort_key_kernelILj37ELj1ELb0ELb0E12hip_bfloat16EvPT3_jj,@function
_Z15sort_key_kernelILj37ELj1ELb0ELb0E12hip_bfloat16EvPT3_jj: ; @_Z15sort_key_kernelILj37ELj1ELb0ELb0E12hip_bfloat16EvPT3_jj
; %bb.0:
	s_load_b128 s[16:19], s[0:1], 0x0
	s_mov_b32 s1, 0
	s_mul_i32 s0, s15, 37
	v_lshlrev_b32_e32 v18, 1, v0
	s_lshl_b64 s[0:1], s[0:1], 1
	v_mbcnt_lo_u32_b32 v2, -1, 0
	v_and_b32_e32 v5, 32, v0
	v_lshrrev_b32_e32 v7, 3, v0
	v_cmp_gt_u32_e64 s10, 0x128, v0
	v_cmp_gt_u32_e64 s2, 2, v0
	v_add_nc_u32_e32 v6, -1, v2
	v_and_b32_e32 v3, 15, v2
	v_and_b32_e32 v4, 16, v2
	;; [unrolled: 1-line block ×3, first 2 shown]
	v_lshlrev_b32_e32 v16, 2, v0
	v_cmp_gt_i32_e32 vcc_lo, 0, v6
	v_lshlrev_b32_e32 v11, 5, v0
	v_cmp_eq_u32_e64 s8, 0, v3
	v_cmp_lt_u32_e64 s7, 1, v3
	v_cmp_lt_u32_e64 s6, 3, v3
	s_waitcnt lgkmcnt(0)
	s_add_u32 s12, s16, s0
	s_addc_u32 s13, s17, s1
	v_cmp_eq_u32_e64 s0, 0, v2
	v_cndmask_b32_e32 v2, v6, v2, vcc_lo
	global_load_u16 v1, v18, s[12:13]
	v_cmp_lt_u32_e64 s5, 7, v3
	v_min_u32_e32 v3, 5, v5
	s_cmp_eq_u32 s18, 0
	v_mad_i32_i24 v15, 0xffffffe4, v0, v11
	s_cselect_b32 s11, -1, 0
	s_cmp_eq_u32 s19, 16
	v_add_nc_u32_e32 v3, 31, v3
	v_lshlrev_b32_e32 v13, 2, v2
	s_cselect_b32 s14, -1, 0
	v_add_co_u32 v9, s12, s12, v18
	s_and_b32 s11, s11, s14
	v_cmp_lt_u32_e64 s1, 31, v0
	v_cmp_eq_u32_e64 s4, 0, v4
	v_and_b32_e32 v14, 4, v7
	v_cmp_eq_u32_e64 s3, 0, v8
	v_sub_nc_u32_e32 v12, v15, v18
	v_cmp_eq_u32_e64 s9, v3, v0
	v_add_co_ci_u32_e64 v10, null, s13, 0, s12
	s_mov_b32 s12, -1
	s_waitcnt vmcnt(0)
	v_cmp_lt_i16_e32 vcc_lo, -1, v1
	v_cndmask_b32_e64 v2, -1, 0xffff8000, vcc_lo
	s_and_b32 vcc_lo, exec_lo, s11
	v_cmp_gt_u32_e64 s11, 0x103, v0
	s_delay_alu instid0(VALU_DEP_2)
	v_xor_b32_e32 v17, v2, v1
	s_cbranch_vccnz .LBB19_21
; %bb.1:
	v_cmp_gt_u32_e64 s12, 0xde, v0
	v_cmp_gt_u32_e64 s13, 0xb9, v0
	;; [unrolled: 1-line block ×6, first 2 shown]
	v_dual_mov_b32 v19, 0 :: v_dual_mov_b32 v2, v17
	s_sub_i32 s20, s19, s18
	s_branch .LBB19_3
.LBB19_2:                               ;   in Loop: Header=BB19_3 Depth=1
	s_barrier
	buffer_gl0_inv
	ds_store_b16 v1, v20
	s_waitcnt lgkmcnt(0)
	s_barrier
	buffer_gl0_inv
	ds_load_u16 v2, v12
	s_add_i32 s20, s20, -4
	s_waitcnt lgkmcnt(0)
	s_barrier
	buffer_gl0_inv
	s_cbranch_execz .LBB19_20
.LBB19_3:                               ; =>This Inner Loop Header: Depth=1
	s_delay_alu instid0(VALU_DEP_1)
	v_mov_b32_e32 v20, v2
	s_and_saveexec_b32 s21, s10
	s_cbranch_execz .LBB19_12
; %bb.4:                                ;   in Loop: Header=BB19_3 Depth=1
	ds_store_b32 v16, v19
	s_and_b32 exec_lo, exec_lo, s11
	s_cbranch_execz .LBB19_12
; %bb.5:                                ;   in Loop: Header=BB19_3 Depth=1
	ds_store_b32 v16, v19 offset:148
	s_and_b32 exec_lo, exec_lo, s12
	s_cbranch_execz .LBB19_12
; %bb.6:                                ;   in Loop: Header=BB19_3 Depth=1
	ds_store_b32 v16, v19 offset:296
	;; [unrolled: 4-line block ×5, first 2 shown]
	s_and_b32 exec_lo, exec_lo, s16
	s_cbranch_execz .LBB19_12
; %bb.10:                               ;   in Loop: Header=BB19_3 Depth=1
	ds_store_b32 v16, v19 offset:888
	s_and_b32 exec_lo, exec_lo, s17
	s_cbranch_execz .LBB19_12
; %bb.11:                               ;   in Loop: Header=BB19_3 Depth=1
	ds_store_b32 v16, v19 offset:1036
.LBB19_12:                              ;   in Loop: Header=BB19_3 Depth=1
	s_or_b32 exec_lo, exec_lo, s21
	s_delay_alu instid0(VALU_DEP_1) | instskip(SKIP_2) | instid1(VALU_DEP_1)
	v_cmp_ne_u16_e32 vcc_lo, 0x7fff, v20
	s_min_u32 s21, s20, 4
	v_cndmask_b32_e32 v1, 0xffff8000, v20, vcc_lo
	v_and_b32_e32 v1, 0xffff, v1
	s_delay_alu instid0(VALU_DEP_1) | instskip(NEXT) | instid1(VALU_DEP_1)
	v_lshrrev_b32_e32 v1, s18, v1
	v_bfe_u32 v1, v1, 0, s21
	s_delay_alu instid0(VALU_DEP_1) | instskip(SKIP_1) | instid1(VALU_DEP_2)
	v_and_b32_e32 v2, 7, v1
	v_lshrrev_b32_e32 v1, 3, v1
	v_mul_u32_u24_e32 v2, 37, v2
	s_delay_alu instid0(VALU_DEP_1) | instskip(NEXT) | instid1(VALU_DEP_1)
	v_add_lshl_u32 v2, v2, v0, 1
	v_add_lshl_u32 v21, v2, v1, 1
	ds_load_u16 v22, v21
	s_waitcnt lgkmcnt(0)
	v_add_nc_u16 v1, v22, 1
	ds_store_b16 v21, v1
	s_waitcnt lgkmcnt(0)
	s_barrier
	buffer_gl0_inv
	ds_load_2addr_b64 v[5:8], v11 offset1:1
	ds_load_2addr_b64 v[1:4], v11 offset0:2 offset1:3
	s_waitcnt lgkmcnt(1)
	v_add_nc_u32_e32 v23, v6, v5
	s_delay_alu instid0(VALU_DEP_1) | instskip(SKIP_1) | instid1(VALU_DEP_1)
	v_add3_u32 v23, v23, v7, v8
	s_waitcnt lgkmcnt(0)
	v_add3_u32 v23, v23, v1, v2
	s_delay_alu instid0(VALU_DEP_1) | instskip(NEXT) | instid1(VALU_DEP_1)
	v_add3_u32 v4, v23, v3, v4
	v_mov_b32_dpp v23, v4 row_shr:1 row_mask:0xf bank_mask:0xf
	s_delay_alu instid0(VALU_DEP_1) | instskip(NEXT) | instid1(VALU_DEP_1)
	v_cndmask_b32_e64 v23, v23, 0, s8
	v_add_nc_u32_e32 v4, v23, v4
	s_delay_alu instid0(VALU_DEP_1) | instskip(NEXT) | instid1(VALU_DEP_1)
	v_mov_b32_dpp v23, v4 row_shr:2 row_mask:0xf bank_mask:0xf
	v_cndmask_b32_e64 v23, 0, v23, s7
	s_delay_alu instid0(VALU_DEP_1) | instskip(NEXT) | instid1(VALU_DEP_1)
	v_add_nc_u32_e32 v4, v4, v23
	v_mov_b32_dpp v23, v4 row_shr:4 row_mask:0xf bank_mask:0xf
	s_delay_alu instid0(VALU_DEP_1) | instskip(NEXT) | instid1(VALU_DEP_1)
	v_cndmask_b32_e64 v23, 0, v23, s6
	v_add_nc_u32_e32 v4, v4, v23
	s_delay_alu instid0(VALU_DEP_1) | instskip(NEXT) | instid1(VALU_DEP_1)
	v_mov_b32_dpp v23, v4 row_shr:8 row_mask:0xf bank_mask:0xf
	v_cndmask_b32_e64 v23, 0, v23, s5
	s_delay_alu instid0(VALU_DEP_1) | instskip(SKIP_3) | instid1(VALU_DEP_1)
	v_add_nc_u32_e32 v4, v4, v23
	ds_swizzle_b32 v23, v4 offset:swizzle(BROADCAST,32,15)
	s_waitcnt lgkmcnt(0)
	v_cndmask_b32_e64 v23, v23, 0, s4
	v_add_nc_u32_e32 v4, v4, v23
	s_and_saveexec_b32 s21, s9
	s_cbranch_execz .LBB19_14
; %bb.13:                               ;   in Loop: Header=BB19_3 Depth=1
	ds_store_b32 v14, v4 offset:1184
.LBB19_14:                              ;   in Loop: Header=BB19_3 Depth=1
	s_or_b32 exec_lo, exec_lo, s21
	s_waitcnt lgkmcnt(0)
	s_barrier
	buffer_gl0_inv
	s_and_saveexec_b32 s21, s2
	s_cbranch_execz .LBB19_16
; %bb.15:                               ;   in Loop: Header=BB19_3 Depth=1
	ds_load_b32 v23, v15 offset:1184
	s_waitcnt lgkmcnt(0)
	v_mov_b32_dpp v24, v23 row_shr:1 row_mask:0xf bank_mask:0xf
	s_delay_alu instid0(VALU_DEP_1) | instskip(NEXT) | instid1(VALU_DEP_1)
	v_cndmask_b32_e64 v24, v24, 0, s3
	v_add_nc_u32_e32 v23, v24, v23
	ds_store_b32 v15, v23 offset:1184
.LBB19_16:                              ;   in Loop: Header=BB19_3 Depth=1
	s_or_b32 exec_lo, exec_lo, s21
	v_mov_b32_e32 v23, 0
	s_waitcnt lgkmcnt(0)
	s_barrier
	buffer_gl0_inv
	s_and_saveexec_b32 s21, s1
	s_cbranch_execz .LBB19_18
; %bb.17:                               ;   in Loop: Header=BB19_3 Depth=1
	ds_load_b32 v23, v14 offset:1180
.LBB19_18:                              ;   in Loop: Header=BB19_3 Depth=1
	s_or_b32 exec_lo, exec_lo, s21
	s_waitcnt lgkmcnt(0)
	v_add_nc_u32_e32 v4, v23, v4
	ds_load_b32 v24, v19 offset:1188
	s_add_i32 s18, s18, 4
	s_delay_alu instid0(SALU_CYCLE_1) | instskip(SKIP_3) | instid1(VALU_DEP_1)
	s_cmp_ge_u32 s18, s19
	ds_bpermute_b32 v4, v13, v4
	s_waitcnt lgkmcnt(0)
	v_cndmask_b32_e64 v4, v4, v23, s0
	v_lshl_add_u32 v4, v24, 16, v4
	s_delay_alu instid0(VALU_DEP_1) | instskip(NEXT) | instid1(VALU_DEP_1)
	v_add_nc_u32_e32 v5, v4, v5
	v_add_nc_u32_e32 v6, v5, v6
	s_delay_alu instid0(VALU_DEP_1) | instskip(NEXT) | instid1(VALU_DEP_1)
	v_add_nc_u32_e32 v7, v6, v7
	v_add_nc_u32_e32 v23, v7, v8
	;; [unrolled: 3-line block ×3, first 2 shown]
	s_delay_alu instid0(VALU_DEP_1)
	v_add_nc_u32_e32 v2, v1, v3
	ds_store_2addr_b64 v11, v[4:5], v[6:7] offset1:1
	ds_store_2addr_b64 v11, v[23:24], v[1:2] offset0:2 offset1:3
	s_waitcnt lgkmcnt(0)
	s_barrier
	buffer_gl0_inv
	ds_load_u16 v1, v21
	v_and_b32_e32 v2, 0xffff, v22
	s_waitcnt lgkmcnt(0)
	s_delay_alu instid0(VALU_DEP_1) | instskip(NEXT) | instid1(VALU_DEP_1)
	v_lshlrev_b32_e32 v2, 1, v2
	v_lshl_add_u32 v1, v1, 1, v2
	s_cbranch_scc0 .LBB19_2
; %bb.19:
                                        ; implicit-def: $vgpr2
                                        ; implicit-def: $sgpr20
.LBB19_20:
	s_mov_b32 s12, 0
	s_barrier
	buffer_gl0_inv
	ds_store_b16 v1, v20
	s_waitcnt lgkmcnt(0)
	s_barrier
.LBB19_21:
	s_and_b32 vcc_lo, exec_lo, s12
	s_cbranch_vccz .LBB19_83
; %bb.22:
	s_and_saveexec_b32 s11, s10
	s_cbranch_execz .LBB19_31
; %bb.23:
	v_dual_mov_b32 v2, 0 :: v_dual_add_nc_u32 v1, v12, v18
	v_cmp_gt_u32_e32 vcc_lo, 0x103, v0
	ds_store_b32 v1, v2
	s_and_b32 exec_lo, exec_lo, vcc_lo
	s_cbranch_execz .LBB19_31
; %bb.24:
	v_cmp_gt_u32_e32 vcc_lo, 0xde, v0
	ds_store_b32 v1, v2 offset:148
	s_and_b32 exec_lo, exec_lo, vcc_lo
	s_cbranch_execz .LBB19_31
; %bb.25:
	v_mov_b32_e32 v2, 0
	v_cmp_gt_u32_e32 vcc_lo, 0xb9, v0
	ds_store_b32 v1, v2 offset:296
	s_and_b32 exec_lo, exec_lo, vcc_lo
	s_cbranch_execz .LBB19_31
; %bb.26:
	v_cmp_gt_u32_e32 vcc_lo, 0x94, v0
	ds_store_b32 v1, v2 offset:444
	s_and_b32 exec_lo, exec_lo, vcc_lo
	s_cbranch_execz .LBB19_31
; %bb.27:
	v_mov_b32_e32 v2, 0
	v_cmp_gt_u32_e32 vcc_lo, 0x6f, v0
	ds_store_b32 v1, v2 offset:592
	;; [unrolled: 11-line block ×3, first 2 shown]
	s_and_b32 exec_lo, exec_lo, vcc_lo
	s_cbranch_execz .LBB19_31
; %bb.30:
	ds_store_b32 v1, v2 offset:1036
.LBB19_31:
	s_or_b32 exec_lo, exec_lo, s11
	v_cmp_ne_u16_e32 vcc_lo, 0x7fff, v17
	v_cndmask_b32_e32 v1, 0xffff8000, v17, vcc_lo
	s_delay_alu instid0(VALU_DEP_1) | instskip(NEXT) | instid1(VALU_DEP_1)
	v_and_b32_e32 v1, 0xffff, v1
	v_and_b32_e32 v2, 7, v1
	v_lshrrev_b32_e32 v1, 2, v1
	s_delay_alu instid0(VALU_DEP_2) | instskip(NEXT) | instid1(VALU_DEP_2)
	v_mad_u32_u24 v2, v2, 37, v0
	v_and_b32_e32 v1, 2, v1
	s_delay_alu instid0(VALU_DEP_1)
	v_lshl_or_b32 v18, v2, 2, v1
	ds_load_u16 v19, v18
	s_waitcnt lgkmcnt(0)
	v_add_nc_u16 v1, v19, 1
	ds_store_b16 v18, v1
	s_waitcnt lgkmcnt(0)
	s_barrier
	buffer_gl0_inv
	ds_load_2addr_b64 v[5:8], v11 offset1:1
	ds_load_2addr_b64 v[1:4], v11 offset0:2 offset1:3
	s_waitcnt lgkmcnt(1)
	v_add_nc_u32_e32 v20, v6, v5
	s_delay_alu instid0(VALU_DEP_1) | instskip(SKIP_1) | instid1(VALU_DEP_1)
	v_add3_u32 v20, v20, v7, v8
	s_waitcnt lgkmcnt(0)
	v_add3_u32 v20, v20, v1, v2
	s_delay_alu instid0(VALU_DEP_1) | instskip(NEXT) | instid1(VALU_DEP_1)
	v_add3_u32 v4, v20, v3, v4
	v_mov_b32_dpp v20, v4 row_shr:1 row_mask:0xf bank_mask:0xf
	s_delay_alu instid0(VALU_DEP_1) | instskip(NEXT) | instid1(VALU_DEP_1)
	v_cndmask_b32_e64 v20, v20, 0, s8
	v_add_nc_u32_e32 v4, v20, v4
	s_delay_alu instid0(VALU_DEP_1) | instskip(NEXT) | instid1(VALU_DEP_1)
	v_mov_b32_dpp v20, v4 row_shr:2 row_mask:0xf bank_mask:0xf
	v_cndmask_b32_e64 v20, 0, v20, s7
	s_delay_alu instid0(VALU_DEP_1) | instskip(NEXT) | instid1(VALU_DEP_1)
	v_add_nc_u32_e32 v4, v4, v20
	v_mov_b32_dpp v20, v4 row_shr:4 row_mask:0xf bank_mask:0xf
	s_delay_alu instid0(VALU_DEP_1) | instskip(NEXT) | instid1(VALU_DEP_1)
	v_cndmask_b32_e64 v20, 0, v20, s6
	v_add_nc_u32_e32 v4, v4, v20
	s_delay_alu instid0(VALU_DEP_1) | instskip(NEXT) | instid1(VALU_DEP_1)
	v_mov_b32_dpp v20, v4 row_shr:8 row_mask:0xf bank_mask:0xf
	v_cndmask_b32_e64 v20, 0, v20, s5
	s_delay_alu instid0(VALU_DEP_1) | instskip(SKIP_3) | instid1(VALU_DEP_1)
	v_add_nc_u32_e32 v4, v4, v20
	ds_swizzle_b32 v20, v4 offset:swizzle(BROADCAST,32,15)
	s_waitcnt lgkmcnt(0)
	v_cndmask_b32_e64 v20, v20, 0, s4
	v_add_nc_u32_e32 v4, v4, v20
	s_and_saveexec_b32 s11, s9
	s_cbranch_execz .LBB19_33
; %bb.32:
	ds_store_b32 v14, v4 offset:1184
.LBB19_33:
	s_or_b32 exec_lo, exec_lo, s11
	s_waitcnt lgkmcnt(0)
	s_barrier
	buffer_gl0_inv
	s_and_saveexec_b32 s11, s2
	s_cbranch_execz .LBB19_35
; %bb.34:
	ds_load_b32 v20, v15 offset:1184
	s_waitcnt lgkmcnt(0)
	v_mov_b32_dpp v21, v20 row_shr:1 row_mask:0xf bank_mask:0xf
	s_delay_alu instid0(VALU_DEP_1) | instskip(NEXT) | instid1(VALU_DEP_1)
	v_cndmask_b32_e64 v21, v21, 0, s3
	v_add_nc_u32_e32 v20, v21, v20
	ds_store_b32 v15, v20 offset:1184
.LBB19_35:
	s_or_b32 exec_lo, exec_lo, s11
	v_dual_mov_b32 v20, 0 :: v_dual_mov_b32 v21, 0
	s_waitcnt lgkmcnt(0)
	s_barrier
	buffer_gl0_inv
	s_and_saveexec_b32 s11, s1
	s_cbranch_execz .LBB19_37
; %bb.36:
	ds_load_b32 v21, v14 offset:1180
.LBB19_37:
	s_or_b32 exec_lo, exec_lo, s11
	s_waitcnt lgkmcnt(0)
	v_add_nc_u32_e32 v4, v21, v4
	ds_load_b32 v20, v20 offset:1188
	ds_bpermute_b32 v4, v13, v4
	s_waitcnt lgkmcnt(0)
	v_cndmask_b32_e64 v4, v4, v21, s0
	s_delay_alu instid0(VALU_DEP_1) | instskip(NEXT) | instid1(VALU_DEP_1)
	v_lshl_add_u32 v4, v20, 16, v4
	v_add_nc_u32_e32 v5, v4, v5
	s_delay_alu instid0(VALU_DEP_1) | instskip(NEXT) | instid1(VALU_DEP_1)
	v_add_nc_u32_e32 v6, v5, v6
	v_add_nc_u32_e32 v7, v6, v7
	s_delay_alu instid0(VALU_DEP_1) | instskip(NEXT) | instid1(VALU_DEP_1)
	v_add_nc_u32_e32 v20, v7, v8
	;; [unrolled: 3-line block ×3, first 2 shown]
	v_add_nc_u32_e32 v2, v1, v3
	ds_store_2addr_b64 v11, v[4:5], v[6:7] offset1:1
	ds_store_2addr_b64 v11, v[20:21], v[1:2] offset0:2 offset1:3
	s_waitcnt lgkmcnt(0)
	s_barrier
	buffer_gl0_inv
	ds_load_u16 v1, v18
	v_and_b32_e32 v2, 0xffff, v19
	s_waitcnt lgkmcnt(0)
	s_barrier
	buffer_gl0_inv
	v_lshlrev_b32_e32 v2, 1, v2
	s_delay_alu instid0(VALU_DEP_1)
	v_lshl_add_u32 v1, v1, 1, v2
	ds_store_b16 v1, v17
	s_waitcnt lgkmcnt(0)
	s_barrier
	buffer_gl0_inv
	ds_load_u16 v17, v12
	s_waitcnt lgkmcnt(0)
	s_barrier
	buffer_gl0_inv
	s_and_saveexec_b32 s11, s10
	s_cbranch_execz .LBB19_46
; %bb.38:
	v_mov_b32_e32 v1, 0
	v_cmp_gt_u32_e32 vcc_lo, 0x103, v0
	ds_store_b32 v16, v1
	s_and_b32 exec_lo, exec_lo, vcc_lo
	s_cbranch_execz .LBB19_46
; %bb.39:
	v_cmp_gt_u32_e32 vcc_lo, 0xde, v0
	ds_store_b32 v16, v1 offset:148
	s_and_b32 exec_lo, exec_lo, vcc_lo
	s_cbranch_execz .LBB19_46
; %bb.40:
	v_mov_b32_e32 v1, 0
	v_cmp_gt_u32_e32 vcc_lo, 0xb9, v0
	ds_store_b32 v16, v1 offset:296
	s_and_b32 exec_lo, exec_lo, vcc_lo
	s_cbranch_execz .LBB19_46
; %bb.41:
	v_cmp_gt_u32_e32 vcc_lo, 0x94, v0
	ds_store_b32 v16, v1 offset:444
	s_and_b32 exec_lo, exec_lo, vcc_lo
	s_cbranch_execz .LBB19_46
; %bb.42:
	v_mov_b32_e32 v1, 0
	v_cmp_gt_u32_e32 vcc_lo, 0x6f, v0
	ds_store_b32 v16, v1 offset:592
	;; [unrolled: 11-line block ×3, first 2 shown]
	s_and_b32 exec_lo, exec_lo, vcc_lo
	s_cbranch_execz .LBB19_46
; %bb.45:
	ds_store_b32 v16, v1 offset:1036
.LBB19_46:
	s_or_b32 exec_lo, exec_lo, s11
	v_lshrrev_b16 v1, 4, v17
	v_cmp_ne_u16_e32 vcc_lo, 0x7fff, v17
	s_delay_alu instid0(VALU_DEP_2) | instskip(NEXT) | instid1(VALU_DEP_1)
	v_cndmask_b32_e32 v1, 0x800, v1, vcc_lo
	v_and_b32_e32 v1, 0xffff, v1
	s_delay_alu instid0(VALU_DEP_1) | instskip(SKIP_1) | instid1(VALU_DEP_2)
	v_and_b32_e32 v2, 7, v1
	v_lshrrev_b32_e32 v1, 2, v1
	v_mad_u32_u24 v2, v2, 37, v0
	s_delay_alu instid0(VALU_DEP_2) | instskip(NEXT) | instid1(VALU_DEP_1)
	v_and_b32_e32 v1, 2, v1
	v_lshl_or_b32 v18, v2, 2, v1
	ds_load_u16 v19, v18
	s_waitcnt lgkmcnt(0)
	v_add_nc_u16 v1, v19, 1
	ds_store_b16 v18, v1
	s_waitcnt lgkmcnt(0)
	s_barrier
	buffer_gl0_inv
	ds_load_2addr_b64 v[5:8], v11 offset1:1
	ds_load_2addr_b64 v[1:4], v11 offset0:2 offset1:3
	s_waitcnt lgkmcnt(1)
	v_add_nc_u32_e32 v20, v6, v5
	s_delay_alu instid0(VALU_DEP_1) | instskip(SKIP_1) | instid1(VALU_DEP_1)
	v_add3_u32 v20, v20, v7, v8
	s_waitcnt lgkmcnt(0)
	v_add3_u32 v20, v20, v1, v2
	s_delay_alu instid0(VALU_DEP_1) | instskip(NEXT) | instid1(VALU_DEP_1)
	v_add3_u32 v4, v20, v3, v4
	v_mov_b32_dpp v20, v4 row_shr:1 row_mask:0xf bank_mask:0xf
	s_delay_alu instid0(VALU_DEP_1) | instskip(NEXT) | instid1(VALU_DEP_1)
	v_cndmask_b32_e64 v20, v20, 0, s8
	v_add_nc_u32_e32 v4, v20, v4
	s_delay_alu instid0(VALU_DEP_1) | instskip(NEXT) | instid1(VALU_DEP_1)
	v_mov_b32_dpp v20, v4 row_shr:2 row_mask:0xf bank_mask:0xf
	v_cndmask_b32_e64 v20, 0, v20, s7
	s_delay_alu instid0(VALU_DEP_1) | instskip(NEXT) | instid1(VALU_DEP_1)
	v_add_nc_u32_e32 v4, v4, v20
	v_mov_b32_dpp v20, v4 row_shr:4 row_mask:0xf bank_mask:0xf
	s_delay_alu instid0(VALU_DEP_1) | instskip(NEXT) | instid1(VALU_DEP_1)
	v_cndmask_b32_e64 v20, 0, v20, s6
	v_add_nc_u32_e32 v4, v4, v20
	s_delay_alu instid0(VALU_DEP_1) | instskip(NEXT) | instid1(VALU_DEP_1)
	v_mov_b32_dpp v20, v4 row_shr:8 row_mask:0xf bank_mask:0xf
	v_cndmask_b32_e64 v20, 0, v20, s5
	s_delay_alu instid0(VALU_DEP_1) | instskip(SKIP_3) | instid1(VALU_DEP_1)
	v_add_nc_u32_e32 v4, v4, v20
	ds_swizzle_b32 v20, v4 offset:swizzle(BROADCAST,32,15)
	s_waitcnt lgkmcnt(0)
	v_cndmask_b32_e64 v20, v20, 0, s4
	v_add_nc_u32_e32 v4, v4, v20
	s_and_saveexec_b32 s11, s9
	s_cbranch_execz .LBB19_48
; %bb.47:
	ds_store_b32 v14, v4 offset:1184
.LBB19_48:
	s_or_b32 exec_lo, exec_lo, s11
	s_waitcnt lgkmcnt(0)
	s_barrier
	buffer_gl0_inv
	s_and_saveexec_b32 s11, s2
	s_cbranch_execz .LBB19_50
; %bb.49:
	ds_load_b32 v20, v15 offset:1184
	s_waitcnt lgkmcnt(0)
	v_mov_b32_dpp v21, v20 row_shr:1 row_mask:0xf bank_mask:0xf
	s_delay_alu instid0(VALU_DEP_1) | instskip(NEXT) | instid1(VALU_DEP_1)
	v_cndmask_b32_e64 v21, v21, 0, s3
	v_add_nc_u32_e32 v20, v21, v20
	ds_store_b32 v15, v20 offset:1184
.LBB19_50:
	s_or_b32 exec_lo, exec_lo, s11
	v_dual_mov_b32 v20, 0 :: v_dual_mov_b32 v21, 0
	s_waitcnt lgkmcnt(0)
	s_barrier
	buffer_gl0_inv
	s_and_saveexec_b32 s11, s1
	s_cbranch_execz .LBB19_52
; %bb.51:
	ds_load_b32 v21, v14 offset:1180
.LBB19_52:
	s_or_b32 exec_lo, exec_lo, s11
	s_waitcnt lgkmcnt(0)
	v_add_nc_u32_e32 v4, v21, v4
	ds_load_b32 v20, v20 offset:1188
	ds_bpermute_b32 v4, v13, v4
	s_waitcnt lgkmcnt(0)
	v_cndmask_b32_e64 v4, v4, v21, s0
	s_delay_alu instid0(VALU_DEP_1) | instskip(NEXT) | instid1(VALU_DEP_1)
	v_lshl_add_u32 v4, v20, 16, v4
	v_add_nc_u32_e32 v5, v4, v5
	s_delay_alu instid0(VALU_DEP_1) | instskip(NEXT) | instid1(VALU_DEP_1)
	v_add_nc_u32_e32 v6, v5, v6
	v_add_nc_u32_e32 v7, v6, v7
	s_delay_alu instid0(VALU_DEP_1) | instskip(NEXT) | instid1(VALU_DEP_1)
	v_add_nc_u32_e32 v20, v7, v8
	;; [unrolled: 3-line block ×3, first 2 shown]
	v_add_nc_u32_e32 v2, v1, v3
	ds_store_2addr_b64 v11, v[4:5], v[6:7] offset1:1
	ds_store_2addr_b64 v11, v[20:21], v[1:2] offset0:2 offset1:3
	s_waitcnt lgkmcnt(0)
	s_barrier
	buffer_gl0_inv
	ds_load_u16 v1, v18
	v_and_b32_e32 v2, 0xffff, v19
	s_waitcnt lgkmcnt(0)
	s_barrier
	buffer_gl0_inv
	v_lshlrev_b32_e32 v2, 1, v2
	s_delay_alu instid0(VALU_DEP_1)
	v_lshl_add_u32 v1, v1, 1, v2
	ds_store_b16 v1, v17
	s_waitcnt lgkmcnt(0)
	s_barrier
	buffer_gl0_inv
	ds_load_u16 v17, v12
	s_waitcnt lgkmcnt(0)
	s_barrier
	buffer_gl0_inv
	s_and_saveexec_b32 s11, s10
	s_cbranch_execz .LBB19_61
; %bb.53:
	v_mov_b32_e32 v1, 0
	v_cmp_gt_u32_e32 vcc_lo, 0x103, v0
	ds_store_b32 v16, v1
	s_and_b32 exec_lo, exec_lo, vcc_lo
	s_cbranch_execz .LBB19_61
; %bb.54:
	v_cmp_gt_u32_e32 vcc_lo, 0xde, v0
	ds_store_b32 v16, v1 offset:148
	s_and_b32 exec_lo, exec_lo, vcc_lo
	s_cbranch_execz .LBB19_61
; %bb.55:
	v_mov_b32_e32 v1, 0
	v_cmp_gt_u32_e32 vcc_lo, 0xb9, v0
	ds_store_b32 v16, v1 offset:296
	s_and_b32 exec_lo, exec_lo, vcc_lo
	s_cbranch_execz .LBB19_61
; %bb.56:
	v_cmp_gt_u32_e32 vcc_lo, 0x94, v0
	ds_store_b32 v16, v1 offset:444
	s_and_b32 exec_lo, exec_lo, vcc_lo
	s_cbranch_execz .LBB19_61
; %bb.57:
	v_mov_b32_e32 v1, 0
	v_cmp_gt_u32_e32 vcc_lo, 0x6f, v0
	ds_store_b32 v16, v1 offset:592
	;; [unrolled: 11-line block ×3, first 2 shown]
	s_and_b32 exec_lo, exec_lo, vcc_lo
	s_cbranch_execz .LBB19_61
; %bb.60:
	ds_store_b32 v16, v1 offset:1036
.LBB19_61:
	s_or_b32 exec_lo, exec_lo, s11
	v_lshrrev_b16 v1, 8, v17
	v_cmp_ne_u16_e32 vcc_lo, 0x7fff, v17
	s_delay_alu instid0(VALU_DEP_2) | instskip(NEXT) | instid1(VALU_DEP_1)
	v_cndmask_b32_e32 v1, 0x80, v1, vcc_lo
	v_and_b32_e32 v1, 0xffff, v1
	s_delay_alu instid0(VALU_DEP_1) | instskip(SKIP_1) | instid1(VALU_DEP_2)
	v_and_b32_e32 v2, 7, v1
	v_lshrrev_b32_e32 v1, 2, v1
	v_mad_u32_u24 v2, v2, 37, v0
	s_delay_alu instid0(VALU_DEP_2) | instskip(NEXT) | instid1(VALU_DEP_1)
	v_and_b32_e32 v1, 2, v1
	v_lshl_or_b32 v18, v2, 2, v1
	ds_load_u16 v19, v18
	s_waitcnt lgkmcnt(0)
	v_add_nc_u16 v1, v19, 1
	ds_store_b16 v18, v1
	s_waitcnt lgkmcnt(0)
	s_barrier
	buffer_gl0_inv
	ds_load_2addr_b64 v[5:8], v11 offset1:1
	ds_load_2addr_b64 v[1:4], v11 offset0:2 offset1:3
	s_waitcnt lgkmcnt(1)
	v_add_nc_u32_e32 v20, v6, v5
	s_delay_alu instid0(VALU_DEP_1) | instskip(SKIP_1) | instid1(VALU_DEP_1)
	v_add3_u32 v20, v20, v7, v8
	s_waitcnt lgkmcnt(0)
	v_add3_u32 v20, v20, v1, v2
	s_delay_alu instid0(VALU_DEP_1) | instskip(NEXT) | instid1(VALU_DEP_1)
	v_add3_u32 v4, v20, v3, v4
	v_mov_b32_dpp v20, v4 row_shr:1 row_mask:0xf bank_mask:0xf
	s_delay_alu instid0(VALU_DEP_1) | instskip(NEXT) | instid1(VALU_DEP_1)
	v_cndmask_b32_e64 v20, v20, 0, s8
	v_add_nc_u32_e32 v4, v20, v4
	s_delay_alu instid0(VALU_DEP_1) | instskip(NEXT) | instid1(VALU_DEP_1)
	v_mov_b32_dpp v20, v4 row_shr:2 row_mask:0xf bank_mask:0xf
	v_cndmask_b32_e64 v20, 0, v20, s7
	s_delay_alu instid0(VALU_DEP_1) | instskip(NEXT) | instid1(VALU_DEP_1)
	v_add_nc_u32_e32 v4, v4, v20
	v_mov_b32_dpp v20, v4 row_shr:4 row_mask:0xf bank_mask:0xf
	s_delay_alu instid0(VALU_DEP_1) | instskip(NEXT) | instid1(VALU_DEP_1)
	v_cndmask_b32_e64 v20, 0, v20, s6
	v_add_nc_u32_e32 v4, v4, v20
	s_delay_alu instid0(VALU_DEP_1) | instskip(NEXT) | instid1(VALU_DEP_1)
	v_mov_b32_dpp v20, v4 row_shr:8 row_mask:0xf bank_mask:0xf
	v_cndmask_b32_e64 v20, 0, v20, s5
	s_delay_alu instid0(VALU_DEP_1) | instskip(SKIP_3) | instid1(VALU_DEP_1)
	v_add_nc_u32_e32 v4, v4, v20
	ds_swizzle_b32 v20, v4 offset:swizzle(BROADCAST,32,15)
	s_waitcnt lgkmcnt(0)
	v_cndmask_b32_e64 v20, v20, 0, s4
	v_add_nc_u32_e32 v4, v4, v20
	s_and_saveexec_b32 s11, s9
	s_cbranch_execz .LBB19_63
; %bb.62:
	ds_store_b32 v14, v4 offset:1184
.LBB19_63:
	s_or_b32 exec_lo, exec_lo, s11
	s_waitcnt lgkmcnt(0)
	s_barrier
	buffer_gl0_inv
	s_and_saveexec_b32 s11, s2
	s_cbranch_execz .LBB19_65
; %bb.64:
	ds_load_b32 v20, v15 offset:1184
	s_waitcnt lgkmcnt(0)
	v_mov_b32_dpp v21, v20 row_shr:1 row_mask:0xf bank_mask:0xf
	s_delay_alu instid0(VALU_DEP_1) | instskip(NEXT) | instid1(VALU_DEP_1)
	v_cndmask_b32_e64 v21, v21, 0, s3
	v_add_nc_u32_e32 v20, v21, v20
	ds_store_b32 v15, v20 offset:1184
.LBB19_65:
	s_or_b32 exec_lo, exec_lo, s11
	v_dual_mov_b32 v20, 0 :: v_dual_mov_b32 v21, 0
	s_waitcnt lgkmcnt(0)
	s_barrier
	buffer_gl0_inv
	s_and_saveexec_b32 s11, s1
	s_cbranch_execz .LBB19_67
; %bb.66:
	ds_load_b32 v21, v14 offset:1180
.LBB19_67:
	s_or_b32 exec_lo, exec_lo, s11
	s_waitcnt lgkmcnt(0)
	v_add_nc_u32_e32 v4, v21, v4
	ds_load_b32 v20, v20 offset:1188
	ds_bpermute_b32 v4, v13, v4
	s_waitcnt lgkmcnt(0)
	v_cndmask_b32_e64 v4, v4, v21, s0
	s_delay_alu instid0(VALU_DEP_1) | instskip(NEXT) | instid1(VALU_DEP_1)
	v_lshl_add_u32 v4, v20, 16, v4
	v_add_nc_u32_e32 v5, v4, v5
	s_delay_alu instid0(VALU_DEP_1) | instskip(NEXT) | instid1(VALU_DEP_1)
	v_add_nc_u32_e32 v6, v5, v6
	v_add_nc_u32_e32 v7, v6, v7
	s_delay_alu instid0(VALU_DEP_1) | instskip(NEXT) | instid1(VALU_DEP_1)
	v_add_nc_u32_e32 v20, v7, v8
	;; [unrolled: 3-line block ×3, first 2 shown]
	v_add_nc_u32_e32 v2, v1, v3
	ds_store_2addr_b64 v11, v[4:5], v[6:7] offset1:1
	ds_store_2addr_b64 v11, v[20:21], v[1:2] offset0:2 offset1:3
	s_waitcnt lgkmcnt(0)
	s_barrier
	buffer_gl0_inv
	ds_load_u16 v1, v18
	v_and_b32_e32 v2, 0xffff, v19
	s_waitcnt lgkmcnt(0)
	s_barrier
	buffer_gl0_inv
	v_lshlrev_b32_e32 v2, 1, v2
	s_delay_alu instid0(VALU_DEP_1)
	v_lshl_add_u32 v1, v1, 1, v2
	ds_store_b16 v1, v17
	s_waitcnt lgkmcnt(0)
	s_barrier
	buffer_gl0_inv
	ds_load_u16 v8, v12
	s_waitcnt lgkmcnt(0)
	s_barrier
	buffer_gl0_inv
	s_and_saveexec_b32 s11, s10
	s_cbranch_execz .LBB19_76
; %bb.68:
	v_mov_b32_e32 v1, 0
	v_cmp_gt_u32_e32 vcc_lo, 0x103, v0
	ds_store_b32 v16, v1
	s_and_b32 exec_lo, exec_lo, vcc_lo
	s_cbranch_execz .LBB19_76
; %bb.69:
	v_cmp_gt_u32_e32 vcc_lo, 0xde, v0
	ds_store_b32 v16, v1 offset:148
	s_and_b32 exec_lo, exec_lo, vcc_lo
	s_cbranch_execz .LBB19_76
; %bb.70:
	v_mov_b32_e32 v1, 0
	v_cmp_gt_u32_e32 vcc_lo, 0xb9, v0
	ds_store_b32 v16, v1 offset:296
	s_and_b32 exec_lo, exec_lo, vcc_lo
	s_cbranch_execz .LBB19_76
; %bb.71:
	v_cmp_gt_u32_e32 vcc_lo, 0x94, v0
	ds_store_b32 v16, v1 offset:444
	s_and_b32 exec_lo, exec_lo, vcc_lo
	s_cbranch_execz .LBB19_76
; %bb.72:
	v_mov_b32_e32 v1, 0
	v_cmp_gt_u32_e32 vcc_lo, 0x6f, v0
	ds_store_b32 v16, v1 offset:592
	;; [unrolled: 11-line block ×3, first 2 shown]
	s_and_b32 exec_lo, exec_lo, vcc_lo
	s_cbranch_execz .LBB19_76
; %bb.75:
	ds_store_b32 v16, v1 offset:1036
.LBB19_76:
	s_or_b32 exec_lo, exec_lo, s11
	v_lshrrev_b16 v1, 12, v8
	v_cmp_ne_u16_e32 vcc_lo, 0x7fff, v8
	s_delay_alu instid0(VALU_DEP_2) | instskip(NEXT) | instid1(VALU_DEP_1)
	v_cndmask_b32_e32 v1, 8, v1, vcc_lo
	v_and_b32_e32 v1, 0xffff, v1
	s_delay_alu instid0(VALU_DEP_1) | instskip(SKIP_1) | instid1(VALU_DEP_2)
	v_and_b32_e32 v2, 7, v1
	v_lshrrev_b32_e32 v1, 2, v1
	v_mad_u32_u24 v0, v2, 37, v0
	s_delay_alu instid0(VALU_DEP_2) | instskip(NEXT) | instid1(VALU_DEP_1)
	v_and_b32_e32 v1, 2, v1
	v_lshl_or_b32 v16, v0, 2, v1
	ds_load_u16 v17, v16
	s_waitcnt lgkmcnt(0)
	v_add_nc_u16 v0, v17, 1
	ds_store_b16 v16, v0
	s_waitcnt lgkmcnt(0)
	s_barrier
	buffer_gl0_inv
	ds_load_2addr_b64 v[4:7], v11 offset1:1
	ds_load_2addr_b64 v[0:3], v11 offset0:2 offset1:3
	s_waitcnt lgkmcnt(1)
	v_add_nc_u32_e32 v18, v5, v4
	s_delay_alu instid0(VALU_DEP_1) | instskip(SKIP_1) | instid1(VALU_DEP_1)
	v_add3_u32 v18, v18, v6, v7
	s_waitcnt lgkmcnt(0)
	v_add3_u32 v18, v18, v0, v1
	s_delay_alu instid0(VALU_DEP_1) | instskip(NEXT) | instid1(VALU_DEP_1)
	v_add3_u32 v3, v18, v2, v3
	v_mov_b32_dpp v18, v3 row_shr:1 row_mask:0xf bank_mask:0xf
	s_delay_alu instid0(VALU_DEP_1) | instskip(NEXT) | instid1(VALU_DEP_1)
	v_cndmask_b32_e64 v18, v18, 0, s8
	v_add_nc_u32_e32 v3, v18, v3
	s_delay_alu instid0(VALU_DEP_1) | instskip(NEXT) | instid1(VALU_DEP_1)
	v_mov_b32_dpp v18, v3 row_shr:2 row_mask:0xf bank_mask:0xf
	v_cndmask_b32_e64 v18, 0, v18, s7
	s_delay_alu instid0(VALU_DEP_1) | instskip(NEXT) | instid1(VALU_DEP_1)
	v_add_nc_u32_e32 v3, v3, v18
	v_mov_b32_dpp v18, v3 row_shr:4 row_mask:0xf bank_mask:0xf
	s_delay_alu instid0(VALU_DEP_1) | instskip(NEXT) | instid1(VALU_DEP_1)
	v_cndmask_b32_e64 v18, 0, v18, s6
	v_add_nc_u32_e32 v3, v3, v18
	s_delay_alu instid0(VALU_DEP_1) | instskip(NEXT) | instid1(VALU_DEP_1)
	v_mov_b32_dpp v18, v3 row_shr:8 row_mask:0xf bank_mask:0xf
	v_cndmask_b32_e64 v18, 0, v18, s5
	s_delay_alu instid0(VALU_DEP_1) | instskip(SKIP_3) | instid1(VALU_DEP_1)
	v_add_nc_u32_e32 v3, v3, v18
	ds_swizzle_b32 v18, v3 offset:swizzle(BROADCAST,32,15)
	s_waitcnt lgkmcnt(0)
	v_cndmask_b32_e64 v18, v18, 0, s4
	v_add_nc_u32_e32 v3, v3, v18
	s_and_saveexec_b32 s4, s9
	s_cbranch_execz .LBB19_78
; %bb.77:
	ds_store_b32 v14, v3 offset:1184
.LBB19_78:
	s_or_b32 exec_lo, exec_lo, s4
	s_waitcnt lgkmcnt(0)
	s_barrier
	buffer_gl0_inv
	s_and_saveexec_b32 s4, s2
	s_cbranch_execz .LBB19_80
; %bb.79:
	ds_load_b32 v18, v15 offset:1184
	s_waitcnt lgkmcnt(0)
	v_mov_b32_dpp v19, v18 row_shr:1 row_mask:0xf bank_mask:0xf
	s_delay_alu instid0(VALU_DEP_1) | instskip(NEXT) | instid1(VALU_DEP_1)
	v_cndmask_b32_e64 v19, v19, 0, s3
	v_add_nc_u32_e32 v18, v19, v18
	ds_store_b32 v15, v18 offset:1184
.LBB19_80:
	s_or_b32 exec_lo, exec_lo, s4
	v_dual_mov_b32 v15, 0 :: v_dual_mov_b32 v18, 0
	s_waitcnt lgkmcnt(0)
	s_barrier
	buffer_gl0_inv
	s_and_saveexec_b32 s2, s1
	s_cbranch_execz .LBB19_82
; %bb.81:
	ds_load_b32 v18, v14 offset:1180
.LBB19_82:
	s_or_b32 exec_lo, exec_lo, s2
	s_waitcnt lgkmcnt(0)
	v_add_nc_u32_e32 v3, v18, v3
	ds_bpermute_b32 v3, v13, v3
	ds_load_b32 v13, v15 offset:1188
	s_waitcnt lgkmcnt(1)
	v_cndmask_b32_e64 v3, v3, v18, s0
	s_waitcnt lgkmcnt(0)
	s_delay_alu instid0(VALU_DEP_1) | instskip(NEXT) | instid1(VALU_DEP_1)
	v_lshl_add_u32 v3, v13, 16, v3
	v_add_nc_u32_e32 v4, v3, v4
	s_delay_alu instid0(VALU_DEP_1) | instskip(NEXT) | instid1(VALU_DEP_1)
	v_add_nc_u32_e32 v5, v4, v5
	v_add_nc_u32_e32 v6, v5, v6
	s_delay_alu instid0(VALU_DEP_1) | instskip(NEXT) | instid1(VALU_DEP_1)
	v_add_nc_u32_e32 v13, v6, v7
	;; [unrolled: 3-line block ×3, first 2 shown]
	v_add_nc_u32_e32 v1, v0, v2
	ds_store_2addr_b64 v11, v[3:4], v[5:6] offset1:1
	ds_store_2addr_b64 v11, v[13:14], v[0:1] offset0:2 offset1:3
	s_waitcnt lgkmcnt(0)
	s_barrier
	buffer_gl0_inv
	ds_load_u16 v0, v16
	v_and_b32_e32 v1, 0xffff, v17
	s_waitcnt lgkmcnt(0)
	s_barrier
	buffer_gl0_inv
	v_lshlrev_b32_e32 v1, 1, v1
	s_delay_alu instid0(VALU_DEP_1)
	v_lshl_add_u32 v0, v0, 1, v1
	ds_store_b16 v0, v8
	s_waitcnt lgkmcnt(0)
	s_barrier
.LBB19_83:
	buffer_gl0_inv
	ds_load_u16 v0, v12
	s_waitcnt lgkmcnt(0)
	v_cmp_lt_i16_e32 vcc_lo, -1, v0
	v_cndmask_b32_e64 v1, 0xffff8000, -1, vcc_lo
	s_delay_alu instid0(VALU_DEP_1)
	v_xor_b32_e32 v0, v1, v0
	global_store_b16 v[9:10], v0, off
	s_nop 0
	s_sendmsg sendmsg(MSG_DEALLOC_VGPRS)
	s_endpgm
	.section	.rodata,"a",@progbits
	.p2align	6, 0x0
	.amdhsa_kernel _Z15sort_key_kernelILj37ELj1ELb0ELb0E12hip_bfloat16EvPT3_jj
		.amdhsa_group_segment_fixed_size 1200
		.amdhsa_private_segment_fixed_size 0
		.amdhsa_kernarg_size 16
		.amdhsa_user_sgpr_count 15
		.amdhsa_user_sgpr_dispatch_ptr 0
		.amdhsa_user_sgpr_queue_ptr 0
		.amdhsa_user_sgpr_kernarg_segment_ptr 1
		.amdhsa_user_sgpr_dispatch_id 0
		.amdhsa_user_sgpr_private_segment_size 0
		.amdhsa_wavefront_size32 1
		.amdhsa_uses_dynamic_stack 0
		.amdhsa_enable_private_segment 0
		.amdhsa_system_sgpr_workgroup_id_x 1
		.amdhsa_system_sgpr_workgroup_id_y 0
		.amdhsa_system_sgpr_workgroup_id_z 0
		.amdhsa_system_sgpr_workgroup_info 0
		.amdhsa_system_vgpr_workitem_id 0
		.amdhsa_next_free_vgpr 25
		.amdhsa_next_free_sgpr 22
		.amdhsa_reserve_vcc 1
		.amdhsa_float_round_mode_32 0
		.amdhsa_float_round_mode_16_64 0
		.amdhsa_float_denorm_mode_32 3
		.amdhsa_float_denorm_mode_16_64 3
		.amdhsa_dx10_clamp 1
		.amdhsa_ieee_mode 1
		.amdhsa_fp16_overflow 0
		.amdhsa_workgroup_processor_mode 1
		.amdhsa_memory_ordered 1
		.amdhsa_forward_progress 0
		.amdhsa_shared_vgpr_count 0
		.amdhsa_exception_fp_ieee_invalid_op 0
		.amdhsa_exception_fp_denorm_src 0
		.amdhsa_exception_fp_ieee_div_zero 0
		.amdhsa_exception_fp_ieee_overflow 0
		.amdhsa_exception_fp_ieee_underflow 0
		.amdhsa_exception_fp_ieee_inexact 0
		.amdhsa_exception_int_div_zero 0
	.end_amdhsa_kernel
	.section	.text._Z15sort_key_kernelILj37ELj1ELb0ELb0E12hip_bfloat16EvPT3_jj,"axG",@progbits,_Z15sort_key_kernelILj37ELj1ELb0ELb0E12hip_bfloat16EvPT3_jj,comdat
.Lfunc_end19:
	.size	_Z15sort_key_kernelILj37ELj1ELb0ELb0E12hip_bfloat16EvPT3_jj, .Lfunc_end19-_Z15sort_key_kernelILj37ELj1ELb0ELb0E12hip_bfloat16EvPT3_jj
                                        ; -- End function
	.section	.AMDGPU.csdata,"",@progbits
; Kernel info:
; codeLenInByte = 4708
; NumSgprs: 24
; NumVgprs: 25
; ScratchSize: 0
; MemoryBound: 0
; FloatMode: 240
; IeeeMode: 1
; LDSByteSize: 1200 bytes/workgroup (compile time only)
; SGPRBlocks: 2
; VGPRBlocks: 3
; NumSGPRsForWavesPerEU: 24
; NumVGPRsForWavesPerEU: 25
; Occupancy: 16
; WaveLimiterHint : 0
; COMPUTE_PGM_RSRC2:SCRATCH_EN: 0
; COMPUTE_PGM_RSRC2:USER_SGPR: 15
; COMPUTE_PGM_RSRC2:TRAP_HANDLER: 0
; COMPUTE_PGM_RSRC2:TGID_X_EN: 1
; COMPUTE_PGM_RSRC2:TGID_Y_EN: 0
; COMPUTE_PGM_RSRC2:TGID_Z_EN: 0
; COMPUTE_PGM_RSRC2:TIDIG_COMP_CNT: 0
	.section	.text._Z15sort_key_kernelILj37ELj1ELb0ELb0EfEvPT3_jj,"axG",@progbits,_Z15sort_key_kernelILj37ELj1ELb0ELb0EfEvPT3_jj,comdat
	.protected	_Z15sort_key_kernelILj37ELj1ELb0ELb0EfEvPT3_jj ; -- Begin function _Z15sort_key_kernelILj37ELj1ELb0ELb0EfEvPT3_jj
	.globl	_Z15sort_key_kernelILj37ELj1ELb0ELb0EfEvPT3_jj
	.p2align	8
	.type	_Z15sort_key_kernelILj37ELj1ELb0ELb0EfEvPT3_jj,@function
_Z15sort_key_kernelILj37ELj1ELb0ELb0EfEvPT3_jj: ; @_Z15sort_key_kernelILj37ELj1ELb0ELb0EfEvPT3_jj
; %bb.0:
	s_load_b128 s[16:19], s[0:1], 0x0
	v_mbcnt_lo_u32_b32 v2, -1, 0
	s_mov_b32 s1, 0
	s_mul_i32 s0, s15, 37
	v_and_b32_e32 v5, 32, v0
	s_lshl_b64 s[0:1], s[0:1], 2
	v_add_nc_u32_e32 v6, -1, v2
	v_and_b32_e32 v3, 15, v2
	v_and_b32_e32 v4, 16, v2
	;; [unrolled: 1-line block ×3, first 2 shown]
	v_lshlrev_b32_e32 v11, 5, v0
	v_cmp_gt_i32_e32 vcc_lo, 0, v6
	v_lshlrev_b32_e32 v15, 2, v0
	v_cmp_eq_u32_e64 s8, 0, v3
	v_cmp_lt_u32_e64 s7, 1, v3
	v_cmp_lt_u32_e64 s6, 3, v3
	;; [unrolled: 1-line block ×3, first 2 shown]
	v_min_u32_e32 v3, 5, v5
	v_lshrrev_b32_e32 v7, 3, v0
	v_mul_i32_i24_e32 v8, 0xffffffe4, v0
	s_waitcnt lgkmcnt(0)
	s_add_u32 s12, s16, s0
	s_addc_u32 s13, s17, s1
	v_cmp_eq_u32_e64 s0, 0, v2
	v_cndmask_b32_e32 v2, v6, v2, vcc_lo
	global_load_b32 v1, v15, s[12:13]
	s_cmp_eq_u32 s18, 0
	v_add_nc_u32_e32 v3, 31, v3
	s_cselect_b32 s11, -1, 0
	s_cmp_eq_u32 s19, 32
	v_lshlrev_b32_e32 v14, 2, v2
	s_cselect_b32 s14, -1, 0
	v_cmp_eq_u32_e64 s3, 0, v9
	s_and_b32 s11, s11, s14
	v_add_co_u32 v9, s12, s12, v15
	v_cmp_gt_u32_e64 s10, 0x128, v0
	v_cmp_gt_u32_e64 s2, 2, v0
	v_cmp_lt_u32_e64 s1, 31, v0
	v_cmp_eq_u32_e64 s4, 0, v4
	v_and_b32_e32 v13, 4, v7
	v_add_nc_u32_e32 v12, v11, v8
	v_cmp_eq_u32_e64 s9, v3, v0
	v_add_co_ci_u32_e64 v10, null, s13, 0, s12
	s_mov_b32 s12, -1
	s_waitcnt vmcnt(0)
	v_cmp_lt_i32_e32 vcc_lo, -1, v1
	v_cndmask_b32_e64 v2, -1, 0x80000000, vcc_lo
	s_and_b32 vcc_lo, exec_lo, s11
	v_cmp_gt_u32_e64 s11, 0x103, v0
	s_delay_alu instid0(VALU_DEP_2)
	v_xor_b32_e32 v16, v2, v1
	s_cbranch_vccnz .LBB20_21
; %bb.1:
	v_cmp_gt_u32_e64 s12, 0xde, v0
	v_cmp_gt_u32_e64 s13, 0xb9, v0
	;; [unrolled: 1-line block ×6, first 2 shown]
	v_dual_mov_b32 v17, 0 :: v_dual_mov_b32 v2, v16
	s_sub_i32 s20, s19, s18
	s_branch .LBB20_3
.LBB20_2:                               ;   in Loop: Header=BB20_3 Depth=1
	s_barrier
	buffer_gl0_inv
	ds_store_b32 v1, v18
	s_waitcnt lgkmcnt(0)
	s_barrier
	buffer_gl0_inv
	ds_load_b32 v2, v12
	s_add_i32 s20, s20, -4
	s_waitcnt lgkmcnt(0)
	s_barrier
	buffer_gl0_inv
	s_cbranch_execz .LBB20_20
.LBB20_3:                               ; =>This Inner Loop Header: Depth=1
	s_delay_alu instid0(VALU_DEP_1)
	v_mov_b32_e32 v18, v2
	s_and_saveexec_b32 s21, s10
	s_cbranch_execz .LBB20_12
; %bb.4:                                ;   in Loop: Header=BB20_3 Depth=1
	ds_store_b32 v15, v17
	s_and_b32 exec_lo, exec_lo, s11
	s_cbranch_execz .LBB20_12
; %bb.5:                                ;   in Loop: Header=BB20_3 Depth=1
	ds_store_b32 v15, v17 offset:148
	s_and_b32 exec_lo, exec_lo, s12
	s_cbranch_execz .LBB20_12
; %bb.6:                                ;   in Loop: Header=BB20_3 Depth=1
	ds_store_b32 v15, v17 offset:296
	;; [unrolled: 4-line block ×5, first 2 shown]
	s_and_b32 exec_lo, exec_lo, s16
	s_cbranch_execz .LBB20_12
; %bb.10:                               ;   in Loop: Header=BB20_3 Depth=1
	ds_store_b32 v15, v17 offset:888
	s_and_b32 exec_lo, exec_lo, s17
	s_cbranch_execz .LBB20_12
; %bb.11:                               ;   in Loop: Header=BB20_3 Depth=1
	ds_store_b32 v15, v17 offset:1036
.LBB20_12:                              ;   in Loop: Header=BB20_3 Depth=1
	s_or_b32 exec_lo, exec_lo, s21
	s_delay_alu instid0(VALU_DEP_1) | instskip(SKIP_2) | instid1(VALU_DEP_1)
	v_cmp_ne_u32_e32 vcc_lo, 0x7fffffff, v18
	s_min_u32 s21, s20, 4
	v_cndmask_b32_e32 v1, 0x80000000, v18, vcc_lo
	v_lshrrev_b32_e32 v1, s18, v1
	s_delay_alu instid0(VALU_DEP_1) | instskip(NEXT) | instid1(VALU_DEP_1)
	v_bfe_u32 v1, v1, 0, s21
	v_and_b32_e32 v2, 7, v1
	v_lshrrev_b32_e32 v1, 3, v1
	s_delay_alu instid0(VALU_DEP_2) | instskip(NEXT) | instid1(VALU_DEP_1)
	v_mul_u32_u24_e32 v2, 37, v2
	v_add_lshl_u32 v2, v2, v0, 1
	s_delay_alu instid0(VALU_DEP_1)
	v_add_lshl_u32 v19, v2, v1, 1
	ds_load_u16 v20, v19
	s_waitcnt lgkmcnt(0)
	v_add_nc_u16 v1, v20, 1
	ds_store_b16 v19, v1
	s_waitcnt lgkmcnt(0)
	s_barrier
	buffer_gl0_inv
	ds_load_2addr_b64 v[5:8], v11 offset1:1
	ds_load_2addr_b64 v[1:4], v11 offset0:2 offset1:3
	s_waitcnt lgkmcnt(1)
	v_add_nc_u32_e32 v21, v6, v5
	s_delay_alu instid0(VALU_DEP_1) | instskip(SKIP_1) | instid1(VALU_DEP_1)
	v_add3_u32 v21, v21, v7, v8
	s_waitcnt lgkmcnt(0)
	v_add3_u32 v21, v21, v1, v2
	s_delay_alu instid0(VALU_DEP_1) | instskip(NEXT) | instid1(VALU_DEP_1)
	v_add3_u32 v4, v21, v3, v4
	v_mov_b32_dpp v21, v4 row_shr:1 row_mask:0xf bank_mask:0xf
	s_delay_alu instid0(VALU_DEP_1) | instskip(NEXT) | instid1(VALU_DEP_1)
	v_cndmask_b32_e64 v21, v21, 0, s8
	v_add_nc_u32_e32 v4, v21, v4
	s_delay_alu instid0(VALU_DEP_1) | instskip(NEXT) | instid1(VALU_DEP_1)
	v_mov_b32_dpp v21, v4 row_shr:2 row_mask:0xf bank_mask:0xf
	v_cndmask_b32_e64 v21, 0, v21, s7
	s_delay_alu instid0(VALU_DEP_1) | instskip(NEXT) | instid1(VALU_DEP_1)
	v_add_nc_u32_e32 v4, v4, v21
	v_mov_b32_dpp v21, v4 row_shr:4 row_mask:0xf bank_mask:0xf
	s_delay_alu instid0(VALU_DEP_1) | instskip(NEXT) | instid1(VALU_DEP_1)
	v_cndmask_b32_e64 v21, 0, v21, s6
	v_add_nc_u32_e32 v4, v4, v21
	s_delay_alu instid0(VALU_DEP_1) | instskip(NEXT) | instid1(VALU_DEP_1)
	v_mov_b32_dpp v21, v4 row_shr:8 row_mask:0xf bank_mask:0xf
	v_cndmask_b32_e64 v21, 0, v21, s5
	s_delay_alu instid0(VALU_DEP_1) | instskip(SKIP_3) | instid1(VALU_DEP_1)
	v_add_nc_u32_e32 v4, v4, v21
	ds_swizzle_b32 v21, v4 offset:swizzle(BROADCAST,32,15)
	s_waitcnt lgkmcnt(0)
	v_cndmask_b32_e64 v21, v21, 0, s4
	v_add_nc_u32_e32 v4, v4, v21
	s_and_saveexec_b32 s21, s9
	s_cbranch_execz .LBB20_14
; %bb.13:                               ;   in Loop: Header=BB20_3 Depth=1
	ds_store_b32 v13, v4 offset:1184
.LBB20_14:                              ;   in Loop: Header=BB20_3 Depth=1
	s_or_b32 exec_lo, exec_lo, s21
	s_waitcnt lgkmcnt(0)
	s_barrier
	buffer_gl0_inv
	s_and_saveexec_b32 s21, s2
	s_cbranch_execz .LBB20_16
; %bb.15:                               ;   in Loop: Header=BB20_3 Depth=1
	ds_load_b32 v21, v12 offset:1184
	s_waitcnt lgkmcnt(0)
	v_mov_b32_dpp v22, v21 row_shr:1 row_mask:0xf bank_mask:0xf
	s_delay_alu instid0(VALU_DEP_1) | instskip(NEXT) | instid1(VALU_DEP_1)
	v_cndmask_b32_e64 v22, v22, 0, s3
	v_add_nc_u32_e32 v21, v22, v21
	ds_store_b32 v12, v21 offset:1184
.LBB20_16:                              ;   in Loop: Header=BB20_3 Depth=1
	s_or_b32 exec_lo, exec_lo, s21
	v_mov_b32_e32 v21, 0
	s_waitcnt lgkmcnt(0)
	s_barrier
	buffer_gl0_inv
	s_and_saveexec_b32 s21, s1
	s_cbranch_execz .LBB20_18
; %bb.17:                               ;   in Loop: Header=BB20_3 Depth=1
	ds_load_b32 v21, v13 offset:1180
.LBB20_18:                              ;   in Loop: Header=BB20_3 Depth=1
	s_or_b32 exec_lo, exec_lo, s21
	s_waitcnt lgkmcnt(0)
	v_add_nc_u32_e32 v4, v21, v4
	ds_load_b32 v22, v17 offset:1188
	s_add_i32 s18, s18, 4
	s_delay_alu instid0(SALU_CYCLE_1) | instskip(SKIP_3) | instid1(VALU_DEP_1)
	s_cmp_ge_u32 s18, s19
	ds_bpermute_b32 v4, v14, v4
	s_waitcnt lgkmcnt(0)
	v_cndmask_b32_e64 v4, v4, v21, s0
	v_lshl_add_u32 v4, v22, 16, v4
	s_delay_alu instid0(VALU_DEP_1) | instskip(NEXT) | instid1(VALU_DEP_1)
	v_add_nc_u32_e32 v5, v4, v5
	v_add_nc_u32_e32 v6, v5, v6
	s_delay_alu instid0(VALU_DEP_1) | instskip(NEXT) | instid1(VALU_DEP_1)
	v_add_nc_u32_e32 v7, v6, v7
	v_add_nc_u32_e32 v21, v7, v8
	s_delay_alu instid0(VALU_DEP_1) | instskip(NEXT) | instid1(VALU_DEP_1)
	v_add_nc_u32_e32 v22, v21, v1
	v_add_nc_u32_e32 v1, v22, v2
	s_delay_alu instid0(VALU_DEP_1)
	v_add_nc_u32_e32 v2, v1, v3
	ds_store_2addr_b64 v11, v[4:5], v[6:7] offset1:1
	ds_store_2addr_b64 v11, v[21:22], v[1:2] offset0:2 offset1:3
	s_waitcnt lgkmcnt(0)
	s_barrier
	buffer_gl0_inv
	ds_load_u16 v1, v19
	v_and_b32_e32 v2, 0xffff, v20
	s_waitcnt lgkmcnt(0)
	s_delay_alu instid0(VALU_DEP_1) | instskip(NEXT) | instid1(VALU_DEP_1)
	v_lshlrev_b32_e32 v2, 2, v2
	v_lshl_add_u32 v1, v1, 2, v2
	s_cbranch_scc0 .LBB20_2
; %bb.19:
                                        ; implicit-def: $vgpr2
                                        ; implicit-def: $sgpr20
.LBB20_20:
	s_mov_b32 s12, 0
	s_barrier
	buffer_gl0_inv
	ds_store_b32 v1, v18
	s_waitcnt lgkmcnt(0)
	s_barrier
.LBB20_21:
	s_and_b32 vcc_lo, exec_lo, s12
	s_cbranch_vccz .LBB20_143
; %bb.22:
	s_and_saveexec_b32 s11, s10
	s_cbranch_execz .LBB20_31
; %bb.23:
	v_mov_b32_e32 v1, 0
	v_cmp_gt_u32_e32 vcc_lo, 0x103, v0
	ds_store_b32 v12, v1
	s_and_b32 exec_lo, exec_lo, vcc_lo
	s_cbranch_execz .LBB20_31
; %bb.24:
	v_cmp_gt_u32_e32 vcc_lo, 0xde, v0
	ds_store_b32 v12, v1 offset:148
	s_and_b32 exec_lo, exec_lo, vcc_lo
	s_cbranch_execz .LBB20_31
; %bb.25:
	v_mov_b32_e32 v1, 0
	v_cmp_gt_u32_e32 vcc_lo, 0xb9, v0
	ds_store_b32 v12, v1 offset:296
	s_and_b32 exec_lo, exec_lo, vcc_lo
	s_cbranch_execz .LBB20_31
; %bb.26:
	v_cmp_gt_u32_e32 vcc_lo, 0x94, v0
	ds_store_b32 v12, v1 offset:444
	s_and_b32 exec_lo, exec_lo, vcc_lo
	s_cbranch_execz .LBB20_31
; %bb.27:
	v_mov_b32_e32 v1, 0
	v_cmp_gt_u32_e32 vcc_lo, 0x6f, v0
	ds_store_b32 v12, v1 offset:592
	;; [unrolled: 11-line block ×3, first 2 shown]
	s_and_b32 exec_lo, exec_lo, vcc_lo
	s_cbranch_execz .LBB20_31
; %bb.30:
	ds_store_b32 v12, v1 offset:1036
.LBB20_31:
	s_or_b32 exec_lo, exec_lo, s11
	v_cmp_ne_u32_e32 vcc_lo, 0x7fffffff, v16
	v_cndmask_b32_e32 v1, 0x80000000, v16, vcc_lo
	s_delay_alu instid0(VALU_DEP_1) | instskip(SKIP_1) | instid1(VALU_DEP_2)
	v_and_b32_e32 v2, 7, v1
	v_lshrrev_b32_e32 v1, 2, v1
	v_mad_u32_u24 v2, v2, 37, v0
	s_delay_alu instid0(VALU_DEP_2) | instskip(NEXT) | instid1(VALU_DEP_1)
	v_and_b32_e32 v1, 2, v1
	v_lshl_or_b32 v17, v2, 2, v1
	ds_load_u16 v18, v17
	s_waitcnt lgkmcnt(0)
	v_add_nc_u16 v1, v18, 1
	ds_store_b16 v17, v1
	s_waitcnt lgkmcnt(0)
	s_barrier
	buffer_gl0_inv
	ds_load_2addr_b64 v[5:8], v11 offset1:1
	ds_load_2addr_b64 v[1:4], v11 offset0:2 offset1:3
	s_waitcnt lgkmcnt(1)
	v_add_nc_u32_e32 v19, v6, v5
	s_delay_alu instid0(VALU_DEP_1) | instskip(SKIP_1) | instid1(VALU_DEP_1)
	v_add3_u32 v19, v19, v7, v8
	s_waitcnt lgkmcnt(0)
	v_add3_u32 v19, v19, v1, v2
	s_delay_alu instid0(VALU_DEP_1) | instskip(NEXT) | instid1(VALU_DEP_1)
	v_add3_u32 v4, v19, v3, v4
	v_mov_b32_dpp v19, v4 row_shr:1 row_mask:0xf bank_mask:0xf
	s_delay_alu instid0(VALU_DEP_1) | instskip(NEXT) | instid1(VALU_DEP_1)
	v_cndmask_b32_e64 v19, v19, 0, s8
	v_add_nc_u32_e32 v4, v19, v4
	s_delay_alu instid0(VALU_DEP_1) | instskip(NEXT) | instid1(VALU_DEP_1)
	v_mov_b32_dpp v19, v4 row_shr:2 row_mask:0xf bank_mask:0xf
	v_cndmask_b32_e64 v19, 0, v19, s7
	s_delay_alu instid0(VALU_DEP_1) | instskip(NEXT) | instid1(VALU_DEP_1)
	v_add_nc_u32_e32 v4, v4, v19
	v_mov_b32_dpp v19, v4 row_shr:4 row_mask:0xf bank_mask:0xf
	s_delay_alu instid0(VALU_DEP_1) | instskip(NEXT) | instid1(VALU_DEP_1)
	v_cndmask_b32_e64 v19, 0, v19, s6
	v_add_nc_u32_e32 v4, v4, v19
	s_delay_alu instid0(VALU_DEP_1) | instskip(NEXT) | instid1(VALU_DEP_1)
	v_mov_b32_dpp v19, v4 row_shr:8 row_mask:0xf bank_mask:0xf
	v_cndmask_b32_e64 v19, 0, v19, s5
	s_delay_alu instid0(VALU_DEP_1) | instskip(SKIP_3) | instid1(VALU_DEP_1)
	v_add_nc_u32_e32 v4, v4, v19
	ds_swizzle_b32 v19, v4 offset:swizzle(BROADCAST,32,15)
	s_waitcnt lgkmcnt(0)
	v_cndmask_b32_e64 v19, v19, 0, s4
	v_add_nc_u32_e32 v4, v4, v19
	s_and_saveexec_b32 s11, s9
	s_cbranch_execz .LBB20_33
; %bb.32:
	ds_store_b32 v13, v4 offset:1184
.LBB20_33:
	s_or_b32 exec_lo, exec_lo, s11
	s_waitcnt lgkmcnt(0)
	s_barrier
	buffer_gl0_inv
	s_and_saveexec_b32 s11, s2
	s_cbranch_execz .LBB20_35
; %bb.34:
	ds_load_b32 v19, v12 offset:1184
	s_waitcnt lgkmcnt(0)
	v_mov_b32_dpp v20, v19 row_shr:1 row_mask:0xf bank_mask:0xf
	s_delay_alu instid0(VALU_DEP_1) | instskip(NEXT) | instid1(VALU_DEP_1)
	v_cndmask_b32_e64 v20, v20, 0, s3
	v_add_nc_u32_e32 v19, v20, v19
	ds_store_b32 v12, v19 offset:1184
.LBB20_35:
	s_or_b32 exec_lo, exec_lo, s11
	v_dual_mov_b32 v19, 0 :: v_dual_mov_b32 v20, 0
	s_waitcnt lgkmcnt(0)
	s_barrier
	buffer_gl0_inv
	s_and_saveexec_b32 s11, s1
	s_cbranch_execz .LBB20_37
; %bb.36:
	ds_load_b32 v20, v13 offset:1180
.LBB20_37:
	s_or_b32 exec_lo, exec_lo, s11
	s_waitcnt lgkmcnt(0)
	v_add_nc_u32_e32 v4, v20, v4
	ds_load_b32 v19, v19 offset:1188
	ds_bpermute_b32 v4, v14, v4
	s_waitcnt lgkmcnt(0)
	v_cndmask_b32_e64 v4, v4, v20, s0
	s_delay_alu instid0(VALU_DEP_1) | instskip(NEXT) | instid1(VALU_DEP_1)
	v_lshl_add_u32 v4, v19, 16, v4
	v_add_nc_u32_e32 v5, v4, v5
	s_delay_alu instid0(VALU_DEP_1) | instskip(NEXT) | instid1(VALU_DEP_1)
	v_add_nc_u32_e32 v6, v5, v6
	v_add_nc_u32_e32 v7, v6, v7
	s_delay_alu instid0(VALU_DEP_1) | instskip(NEXT) | instid1(VALU_DEP_1)
	v_add_nc_u32_e32 v19, v7, v8
	;; [unrolled: 3-line block ×3, first 2 shown]
	v_add_nc_u32_e32 v2, v1, v3
	ds_store_2addr_b64 v11, v[4:5], v[6:7] offset1:1
	ds_store_2addr_b64 v11, v[19:20], v[1:2] offset0:2 offset1:3
	s_waitcnt lgkmcnt(0)
	s_barrier
	buffer_gl0_inv
	ds_load_u16 v1, v17
	v_and_b32_e32 v2, 0xffff, v18
	s_waitcnt lgkmcnt(0)
	s_barrier
	buffer_gl0_inv
	v_lshlrev_b32_e32 v2, 2, v2
	s_delay_alu instid0(VALU_DEP_1)
	v_lshl_add_u32 v1, v1, 2, v2
	ds_store_b32 v1, v16
	s_waitcnt lgkmcnt(0)
	s_barrier
	buffer_gl0_inv
	ds_load_b32 v16, v12
	s_waitcnt lgkmcnt(0)
	s_barrier
	buffer_gl0_inv
	s_and_saveexec_b32 s11, s10
	s_cbranch_execz .LBB20_46
; %bb.38:
	v_mov_b32_e32 v1, 0
	v_cmp_gt_u32_e32 vcc_lo, 0x103, v0
	ds_store_b32 v15, v1
	s_and_b32 exec_lo, exec_lo, vcc_lo
	s_cbranch_execz .LBB20_46
; %bb.39:
	v_cmp_gt_u32_e32 vcc_lo, 0xde, v0
	ds_store_b32 v15, v1 offset:148
	s_and_b32 exec_lo, exec_lo, vcc_lo
	s_cbranch_execz .LBB20_46
; %bb.40:
	v_mov_b32_e32 v1, 0
	v_cmp_gt_u32_e32 vcc_lo, 0xb9, v0
	ds_store_b32 v15, v1 offset:296
	s_and_b32 exec_lo, exec_lo, vcc_lo
	s_cbranch_execz .LBB20_46
; %bb.41:
	v_cmp_gt_u32_e32 vcc_lo, 0x94, v0
	ds_store_b32 v15, v1 offset:444
	s_and_b32 exec_lo, exec_lo, vcc_lo
	s_cbranch_execz .LBB20_46
; %bb.42:
	v_mov_b32_e32 v1, 0
	v_cmp_gt_u32_e32 vcc_lo, 0x6f, v0
	ds_store_b32 v15, v1 offset:592
	;; [unrolled: 11-line block ×3, first 2 shown]
	s_and_b32 exec_lo, exec_lo, vcc_lo
	s_cbranch_execz .LBB20_46
; %bb.45:
	ds_store_b32 v15, v1 offset:1036
.LBB20_46:
	s_or_b32 exec_lo, exec_lo, s11
	v_lshrrev_b32_e32 v1, 4, v16
	v_cmp_ne_u32_e32 vcc_lo, 0x7fffffff, v16
	s_delay_alu instid0(VALU_DEP_2) | instskip(NEXT) | instid1(VALU_DEP_1)
	v_cndmask_b32_e32 v1, 0x8000000, v1, vcc_lo
	v_and_b32_e32 v2, 7, v1
	v_lshrrev_b32_e32 v1, 2, v1
	s_delay_alu instid0(VALU_DEP_2) | instskip(NEXT) | instid1(VALU_DEP_2)
	v_mad_u32_u24 v2, v2, 37, v0
	v_and_b32_e32 v1, 2, v1
	s_delay_alu instid0(VALU_DEP_1)
	v_lshl_or_b32 v17, v2, 2, v1
	ds_load_u16 v18, v17
	s_waitcnt lgkmcnt(0)
	v_add_nc_u16 v1, v18, 1
	ds_store_b16 v17, v1
	s_waitcnt lgkmcnt(0)
	s_barrier
	buffer_gl0_inv
	ds_load_2addr_b64 v[5:8], v11 offset1:1
	ds_load_2addr_b64 v[1:4], v11 offset0:2 offset1:3
	s_waitcnt lgkmcnt(1)
	v_add_nc_u32_e32 v19, v6, v5
	s_delay_alu instid0(VALU_DEP_1) | instskip(SKIP_1) | instid1(VALU_DEP_1)
	v_add3_u32 v19, v19, v7, v8
	s_waitcnt lgkmcnt(0)
	v_add3_u32 v19, v19, v1, v2
	s_delay_alu instid0(VALU_DEP_1) | instskip(NEXT) | instid1(VALU_DEP_1)
	v_add3_u32 v4, v19, v3, v4
	v_mov_b32_dpp v19, v4 row_shr:1 row_mask:0xf bank_mask:0xf
	s_delay_alu instid0(VALU_DEP_1) | instskip(NEXT) | instid1(VALU_DEP_1)
	v_cndmask_b32_e64 v19, v19, 0, s8
	v_add_nc_u32_e32 v4, v19, v4
	s_delay_alu instid0(VALU_DEP_1) | instskip(NEXT) | instid1(VALU_DEP_1)
	v_mov_b32_dpp v19, v4 row_shr:2 row_mask:0xf bank_mask:0xf
	v_cndmask_b32_e64 v19, 0, v19, s7
	s_delay_alu instid0(VALU_DEP_1) | instskip(NEXT) | instid1(VALU_DEP_1)
	v_add_nc_u32_e32 v4, v4, v19
	v_mov_b32_dpp v19, v4 row_shr:4 row_mask:0xf bank_mask:0xf
	s_delay_alu instid0(VALU_DEP_1) | instskip(NEXT) | instid1(VALU_DEP_1)
	v_cndmask_b32_e64 v19, 0, v19, s6
	v_add_nc_u32_e32 v4, v4, v19
	s_delay_alu instid0(VALU_DEP_1) | instskip(NEXT) | instid1(VALU_DEP_1)
	v_mov_b32_dpp v19, v4 row_shr:8 row_mask:0xf bank_mask:0xf
	v_cndmask_b32_e64 v19, 0, v19, s5
	s_delay_alu instid0(VALU_DEP_1) | instskip(SKIP_3) | instid1(VALU_DEP_1)
	v_add_nc_u32_e32 v4, v4, v19
	ds_swizzle_b32 v19, v4 offset:swizzle(BROADCAST,32,15)
	s_waitcnt lgkmcnt(0)
	v_cndmask_b32_e64 v19, v19, 0, s4
	v_add_nc_u32_e32 v4, v4, v19
	s_and_saveexec_b32 s11, s9
	s_cbranch_execz .LBB20_48
; %bb.47:
	ds_store_b32 v13, v4 offset:1184
.LBB20_48:
	s_or_b32 exec_lo, exec_lo, s11
	s_waitcnt lgkmcnt(0)
	s_barrier
	buffer_gl0_inv
	s_and_saveexec_b32 s11, s2
	s_cbranch_execz .LBB20_50
; %bb.49:
	ds_load_b32 v19, v12 offset:1184
	s_waitcnt lgkmcnt(0)
	v_mov_b32_dpp v20, v19 row_shr:1 row_mask:0xf bank_mask:0xf
	s_delay_alu instid0(VALU_DEP_1) | instskip(NEXT) | instid1(VALU_DEP_1)
	v_cndmask_b32_e64 v20, v20, 0, s3
	v_add_nc_u32_e32 v19, v20, v19
	ds_store_b32 v12, v19 offset:1184
.LBB20_50:
	s_or_b32 exec_lo, exec_lo, s11
	v_dual_mov_b32 v19, 0 :: v_dual_mov_b32 v20, 0
	s_waitcnt lgkmcnt(0)
	s_barrier
	buffer_gl0_inv
	s_and_saveexec_b32 s11, s1
	s_cbranch_execz .LBB20_52
; %bb.51:
	ds_load_b32 v20, v13 offset:1180
.LBB20_52:
	s_or_b32 exec_lo, exec_lo, s11
	s_waitcnt lgkmcnt(0)
	v_add_nc_u32_e32 v4, v20, v4
	ds_load_b32 v19, v19 offset:1188
	ds_bpermute_b32 v4, v14, v4
	s_waitcnt lgkmcnt(0)
	v_cndmask_b32_e64 v4, v4, v20, s0
	s_delay_alu instid0(VALU_DEP_1) | instskip(NEXT) | instid1(VALU_DEP_1)
	v_lshl_add_u32 v4, v19, 16, v4
	v_add_nc_u32_e32 v5, v4, v5
	s_delay_alu instid0(VALU_DEP_1) | instskip(NEXT) | instid1(VALU_DEP_1)
	v_add_nc_u32_e32 v6, v5, v6
	v_add_nc_u32_e32 v7, v6, v7
	s_delay_alu instid0(VALU_DEP_1) | instskip(NEXT) | instid1(VALU_DEP_1)
	v_add_nc_u32_e32 v19, v7, v8
	;; [unrolled: 3-line block ×3, first 2 shown]
	v_add_nc_u32_e32 v2, v1, v3
	ds_store_2addr_b64 v11, v[4:5], v[6:7] offset1:1
	ds_store_2addr_b64 v11, v[19:20], v[1:2] offset0:2 offset1:3
	s_waitcnt lgkmcnt(0)
	s_barrier
	buffer_gl0_inv
	ds_load_u16 v1, v17
	v_and_b32_e32 v2, 0xffff, v18
	s_waitcnt lgkmcnt(0)
	s_barrier
	buffer_gl0_inv
	v_lshlrev_b32_e32 v2, 2, v2
	s_delay_alu instid0(VALU_DEP_1)
	v_lshl_add_u32 v1, v1, 2, v2
	ds_store_b32 v1, v16
	s_waitcnt lgkmcnt(0)
	s_barrier
	buffer_gl0_inv
	ds_load_b32 v16, v12
	s_waitcnt lgkmcnt(0)
	s_barrier
	buffer_gl0_inv
	s_and_saveexec_b32 s11, s10
	s_cbranch_execz .LBB20_61
; %bb.53:
	v_mov_b32_e32 v1, 0
	v_cmp_gt_u32_e32 vcc_lo, 0x103, v0
	ds_store_b32 v15, v1
	s_and_b32 exec_lo, exec_lo, vcc_lo
	s_cbranch_execz .LBB20_61
; %bb.54:
	v_cmp_gt_u32_e32 vcc_lo, 0xde, v0
	ds_store_b32 v15, v1 offset:148
	s_and_b32 exec_lo, exec_lo, vcc_lo
	s_cbranch_execz .LBB20_61
; %bb.55:
	v_mov_b32_e32 v1, 0
	v_cmp_gt_u32_e32 vcc_lo, 0xb9, v0
	ds_store_b32 v15, v1 offset:296
	s_and_b32 exec_lo, exec_lo, vcc_lo
	s_cbranch_execz .LBB20_61
; %bb.56:
	v_cmp_gt_u32_e32 vcc_lo, 0x94, v0
	ds_store_b32 v15, v1 offset:444
	s_and_b32 exec_lo, exec_lo, vcc_lo
	s_cbranch_execz .LBB20_61
; %bb.57:
	v_mov_b32_e32 v1, 0
	v_cmp_gt_u32_e32 vcc_lo, 0x6f, v0
	ds_store_b32 v15, v1 offset:592
	;; [unrolled: 11-line block ×3, first 2 shown]
	s_and_b32 exec_lo, exec_lo, vcc_lo
	s_cbranch_execz .LBB20_61
; %bb.60:
	ds_store_b32 v15, v1 offset:1036
.LBB20_61:
	s_or_b32 exec_lo, exec_lo, s11
	v_lshrrev_b32_e32 v1, 8, v16
	v_cmp_ne_u32_e32 vcc_lo, 0x7fffffff, v16
	s_delay_alu instid0(VALU_DEP_2) | instskip(NEXT) | instid1(VALU_DEP_1)
	v_cndmask_b32_e32 v1, 0x800000, v1, vcc_lo
	v_and_b32_e32 v2, 7, v1
	v_lshrrev_b32_e32 v1, 2, v1
	s_delay_alu instid0(VALU_DEP_2) | instskip(NEXT) | instid1(VALU_DEP_2)
	v_mad_u32_u24 v2, v2, 37, v0
	v_and_b32_e32 v1, 2, v1
	s_delay_alu instid0(VALU_DEP_1)
	v_lshl_or_b32 v17, v2, 2, v1
	ds_load_u16 v18, v17
	s_waitcnt lgkmcnt(0)
	v_add_nc_u16 v1, v18, 1
	ds_store_b16 v17, v1
	s_waitcnt lgkmcnt(0)
	s_barrier
	buffer_gl0_inv
	ds_load_2addr_b64 v[5:8], v11 offset1:1
	ds_load_2addr_b64 v[1:4], v11 offset0:2 offset1:3
	s_waitcnt lgkmcnt(1)
	v_add_nc_u32_e32 v19, v6, v5
	s_delay_alu instid0(VALU_DEP_1) | instskip(SKIP_1) | instid1(VALU_DEP_1)
	v_add3_u32 v19, v19, v7, v8
	s_waitcnt lgkmcnt(0)
	v_add3_u32 v19, v19, v1, v2
	s_delay_alu instid0(VALU_DEP_1) | instskip(NEXT) | instid1(VALU_DEP_1)
	v_add3_u32 v4, v19, v3, v4
	v_mov_b32_dpp v19, v4 row_shr:1 row_mask:0xf bank_mask:0xf
	s_delay_alu instid0(VALU_DEP_1) | instskip(NEXT) | instid1(VALU_DEP_1)
	v_cndmask_b32_e64 v19, v19, 0, s8
	v_add_nc_u32_e32 v4, v19, v4
	s_delay_alu instid0(VALU_DEP_1) | instskip(NEXT) | instid1(VALU_DEP_1)
	v_mov_b32_dpp v19, v4 row_shr:2 row_mask:0xf bank_mask:0xf
	v_cndmask_b32_e64 v19, 0, v19, s7
	s_delay_alu instid0(VALU_DEP_1) | instskip(NEXT) | instid1(VALU_DEP_1)
	v_add_nc_u32_e32 v4, v4, v19
	v_mov_b32_dpp v19, v4 row_shr:4 row_mask:0xf bank_mask:0xf
	s_delay_alu instid0(VALU_DEP_1) | instskip(NEXT) | instid1(VALU_DEP_1)
	v_cndmask_b32_e64 v19, 0, v19, s6
	v_add_nc_u32_e32 v4, v4, v19
	s_delay_alu instid0(VALU_DEP_1) | instskip(NEXT) | instid1(VALU_DEP_1)
	v_mov_b32_dpp v19, v4 row_shr:8 row_mask:0xf bank_mask:0xf
	v_cndmask_b32_e64 v19, 0, v19, s5
	s_delay_alu instid0(VALU_DEP_1) | instskip(SKIP_3) | instid1(VALU_DEP_1)
	v_add_nc_u32_e32 v4, v4, v19
	ds_swizzle_b32 v19, v4 offset:swizzle(BROADCAST,32,15)
	s_waitcnt lgkmcnt(0)
	v_cndmask_b32_e64 v19, v19, 0, s4
	v_add_nc_u32_e32 v4, v4, v19
	s_and_saveexec_b32 s11, s9
	s_cbranch_execz .LBB20_63
; %bb.62:
	ds_store_b32 v13, v4 offset:1184
.LBB20_63:
	s_or_b32 exec_lo, exec_lo, s11
	s_waitcnt lgkmcnt(0)
	s_barrier
	buffer_gl0_inv
	s_and_saveexec_b32 s11, s2
	s_cbranch_execz .LBB20_65
; %bb.64:
	ds_load_b32 v19, v12 offset:1184
	s_waitcnt lgkmcnt(0)
	v_mov_b32_dpp v20, v19 row_shr:1 row_mask:0xf bank_mask:0xf
	s_delay_alu instid0(VALU_DEP_1) | instskip(NEXT) | instid1(VALU_DEP_1)
	v_cndmask_b32_e64 v20, v20, 0, s3
	v_add_nc_u32_e32 v19, v20, v19
	ds_store_b32 v12, v19 offset:1184
.LBB20_65:
	s_or_b32 exec_lo, exec_lo, s11
	v_dual_mov_b32 v19, 0 :: v_dual_mov_b32 v20, 0
	s_waitcnt lgkmcnt(0)
	s_barrier
	buffer_gl0_inv
	s_and_saveexec_b32 s11, s1
	s_cbranch_execz .LBB20_67
; %bb.66:
	ds_load_b32 v20, v13 offset:1180
.LBB20_67:
	s_or_b32 exec_lo, exec_lo, s11
	s_waitcnt lgkmcnt(0)
	v_add_nc_u32_e32 v4, v20, v4
	ds_load_b32 v19, v19 offset:1188
	ds_bpermute_b32 v4, v14, v4
	s_waitcnt lgkmcnt(0)
	v_cndmask_b32_e64 v4, v4, v20, s0
	s_delay_alu instid0(VALU_DEP_1) | instskip(NEXT) | instid1(VALU_DEP_1)
	v_lshl_add_u32 v4, v19, 16, v4
	v_add_nc_u32_e32 v5, v4, v5
	s_delay_alu instid0(VALU_DEP_1) | instskip(NEXT) | instid1(VALU_DEP_1)
	v_add_nc_u32_e32 v6, v5, v6
	v_add_nc_u32_e32 v7, v6, v7
	s_delay_alu instid0(VALU_DEP_1) | instskip(NEXT) | instid1(VALU_DEP_1)
	v_add_nc_u32_e32 v19, v7, v8
	;; [unrolled: 3-line block ×3, first 2 shown]
	v_add_nc_u32_e32 v2, v1, v3
	ds_store_2addr_b64 v11, v[4:5], v[6:7] offset1:1
	ds_store_2addr_b64 v11, v[19:20], v[1:2] offset0:2 offset1:3
	s_waitcnt lgkmcnt(0)
	s_barrier
	buffer_gl0_inv
	ds_load_u16 v1, v17
	v_and_b32_e32 v2, 0xffff, v18
	s_waitcnt lgkmcnt(0)
	s_barrier
	buffer_gl0_inv
	v_lshlrev_b32_e32 v2, 2, v2
	s_delay_alu instid0(VALU_DEP_1)
	v_lshl_add_u32 v1, v1, 2, v2
	ds_store_b32 v1, v16
	s_waitcnt lgkmcnt(0)
	s_barrier
	buffer_gl0_inv
	ds_load_b32 v16, v12
	s_waitcnt lgkmcnt(0)
	s_barrier
	buffer_gl0_inv
	s_and_saveexec_b32 s11, s10
	s_cbranch_execz .LBB20_76
; %bb.68:
	v_mov_b32_e32 v1, 0
	v_cmp_gt_u32_e32 vcc_lo, 0x103, v0
	ds_store_b32 v15, v1
	s_and_b32 exec_lo, exec_lo, vcc_lo
	s_cbranch_execz .LBB20_76
; %bb.69:
	v_cmp_gt_u32_e32 vcc_lo, 0xde, v0
	ds_store_b32 v15, v1 offset:148
	s_and_b32 exec_lo, exec_lo, vcc_lo
	s_cbranch_execz .LBB20_76
; %bb.70:
	v_mov_b32_e32 v1, 0
	v_cmp_gt_u32_e32 vcc_lo, 0xb9, v0
	ds_store_b32 v15, v1 offset:296
	s_and_b32 exec_lo, exec_lo, vcc_lo
	s_cbranch_execz .LBB20_76
; %bb.71:
	v_cmp_gt_u32_e32 vcc_lo, 0x94, v0
	ds_store_b32 v15, v1 offset:444
	s_and_b32 exec_lo, exec_lo, vcc_lo
	s_cbranch_execz .LBB20_76
; %bb.72:
	v_mov_b32_e32 v1, 0
	v_cmp_gt_u32_e32 vcc_lo, 0x6f, v0
	ds_store_b32 v15, v1 offset:592
	;; [unrolled: 11-line block ×3, first 2 shown]
	s_and_b32 exec_lo, exec_lo, vcc_lo
	s_cbranch_execz .LBB20_76
; %bb.75:
	ds_store_b32 v15, v1 offset:1036
.LBB20_76:
	s_or_b32 exec_lo, exec_lo, s11
	v_lshrrev_b32_e32 v1, 12, v16
	v_cmp_ne_u32_e32 vcc_lo, 0x7fffffff, v16
	s_delay_alu instid0(VALU_DEP_2) | instskip(NEXT) | instid1(VALU_DEP_1)
	v_cndmask_b32_e32 v1, 0x80000, v1, vcc_lo
	v_and_b32_e32 v2, 7, v1
	v_lshrrev_b32_e32 v1, 2, v1
	s_delay_alu instid0(VALU_DEP_2) | instskip(NEXT) | instid1(VALU_DEP_2)
	v_mad_u32_u24 v2, v2, 37, v0
	v_and_b32_e32 v1, 2, v1
	s_delay_alu instid0(VALU_DEP_1)
	v_lshl_or_b32 v17, v2, 2, v1
	ds_load_u16 v18, v17
	s_waitcnt lgkmcnt(0)
	v_add_nc_u16 v1, v18, 1
	ds_store_b16 v17, v1
	s_waitcnt lgkmcnt(0)
	s_barrier
	buffer_gl0_inv
	ds_load_2addr_b64 v[5:8], v11 offset1:1
	ds_load_2addr_b64 v[1:4], v11 offset0:2 offset1:3
	s_waitcnt lgkmcnt(1)
	v_add_nc_u32_e32 v19, v6, v5
	s_delay_alu instid0(VALU_DEP_1) | instskip(SKIP_1) | instid1(VALU_DEP_1)
	v_add3_u32 v19, v19, v7, v8
	s_waitcnt lgkmcnt(0)
	v_add3_u32 v19, v19, v1, v2
	s_delay_alu instid0(VALU_DEP_1) | instskip(NEXT) | instid1(VALU_DEP_1)
	v_add3_u32 v4, v19, v3, v4
	v_mov_b32_dpp v19, v4 row_shr:1 row_mask:0xf bank_mask:0xf
	s_delay_alu instid0(VALU_DEP_1) | instskip(NEXT) | instid1(VALU_DEP_1)
	v_cndmask_b32_e64 v19, v19, 0, s8
	v_add_nc_u32_e32 v4, v19, v4
	s_delay_alu instid0(VALU_DEP_1) | instskip(NEXT) | instid1(VALU_DEP_1)
	v_mov_b32_dpp v19, v4 row_shr:2 row_mask:0xf bank_mask:0xf
	v_cndmask_b32_e64 v19, 0, v19, s7
	s_delay_alu instid0(VALU_DEP_1) | instskip(NEXT) | instid1(VALU_DEP_1)
	v_add_nc_u32_e32 v4, v4, v19
	v_mov_b32_dpp v19, v4 row_shr:4 row_mask:0xf bank_mask:0xf
	s_delay_alu instid0(VALU_DEP_1) | instskip(NEXT) | instid1(VALU_DEP_1)
	v_cndmask_b32_e64 v19, 0, v19, s6
	v_add_nc_u32_e32 v4, v4, v19
	s_delay_alu instid0(VALU_DEP_1) | instskip(NEXT) | instid1(VALU_DEP_1)
	v_mov_b32_dpp v19, v4 row_shr:8 row_mask:0xf bank_mask:0xf
	v_cndmask_b32_e64 v19, 0, v19, s5
	s_delay_alu instid0(VALU_DEP_1) | instskip(SKIP_3) | instid1(VALU_DEP_1)
	v_add_nc_u32_e32 v4, v4, v19
	ds_swizzle_b32 v19, v4 offset:swizzle(BROADCAST,32,15)
	s_waitcnt lgkmcnt(0)
	v_cndmask_b32_e64 v19, v19, 0, s4
	v_add_nc_u32_e32 v4, v4, v19
	s_and_saveexec_b32 s11, s9
	s_cbranch_execz .LBB20_78
; %bb.77:
	ds_store_b32 v13, v4 offset:1184
.LBB20_78:
	s_or_b32 exec_lo, exec_lo, s11
	s_waitcnt lgkmcnt(0)
	s_barrier
	buffer_gl0_inv
	s_and_saveexec_b32 s11, s2
	s_cbranch_execz .LBB20_80
; %bb.79:
	ds_load_b32 v19, v12 offset:1184
	s_waitcnt lgkmcnt(0)
	v_mov_b32_dpp v20, v19 row_shr:1 row_mask:0xf bank_mask:0xf
	s_delay_alu instid0(VALU_DEP_1) | instskip(NEXT) | instid1(VALU_DEP_1)
	v_cndmask_b32_e64 v20, v20, 0, s3
	v_add_nc_u32_e32 v19, v20, v19
	ds_store_b32 v12, v19 offset:1184
.LBB20_80:
	s_or_b32 exec_lo, exec_lo, s11
	v_dual_mov_b32 v19, 0 :: v_dual_mov_b32 v20, 0
	s_waitcnt lgkmcnt(0)
	s_barrier
	buffer_gl0_inv
	s_and_saveexec_b32 s11, s1
	s_cbranch_execz .LBB20_82
; %bb.81:
	ds_load_b32 v20, v13 offset:1180
.LBB20_82:
	s_or_b32 exec_lo, exec_lo, s11
	s_waitcnt lgkmcnt(0)
	v_add_nc_u32_e32 v4, v20, v4
	ds_load_b32 v19, v19 offset:1188
	ds_bpermute_b32 v4, v14, v4
	s_waitcnt lgkmcnt(0)
	v_cndmask_b32_e64 v4, v4, v20, s0
	s_delay_alu instid0(VALU_DEP_1) | instskip(NEXT) | instid1(VALU_DEP_1)
	v_lshl_add_u32 v4, v19, 16, v4
	v_add_nc_u32_e32 v5, v4, v5
	s_delay_alu instid0(VALU_DEP_1) | instskip(NEXT) | instid1(VALU_DEP_1)
	v_add_nc_u32_e32 v6, v5, v6
	v_add_nc_u32_e32 v7, v6, v7
	s_delay_alu instid0(VALU_DEP_1) | instskip(NEXT) | instid1(VALU_DEP_1)
	v_add_nc_u32_e32 v19, v7, v8
	;; [unrolled: 3-line block ×3, first 2 shown]
	v_add_nc_u32_e32 v2, v1, v3
	ds_store_2addr_b64 v11, v[4:5], v[6:7] offset1:1
	ds_store_2addr_b64 v11, v[19:20], v[1:2] offset0:2 offset1:3
	s_waitcnt lgkmcnt(0)
	s_barrier
	buffer_gl0_inv
	ds_load_u16 v1, v17
	v_and_b32_e32 v2, 0xffff, v18
	s_waitcnt lgkmcnt(0)
	s_barrier
	buffer_gl0_inv
	v_lshlrev_b32_e32 v2, 2, v2
	s_delay_alu instid0(VALU_DEP_1)
	v_lshl_add_u32 v1, v1, 2, v2
	ds_store_b32 v1, v16
	s_waitcnt lgkmcnt(0)
	s_barrier
	buffer_gl0_inv
	ds_load_b32 v16, v12
	s_waitcnt lgkmcnt(0)
	s_barrier
	buffer_gl0_inv
	s_and_saveexec_b32 s11, s10
	s_cbranch_execz .LBB20_91
; %bb.83:
	v_mov_b32_e32 v1, 0
	v_cmp_gt_u32_e32 vcc_lo, 0x103, v0
	ds_store_b32 v15, v1
	s_and_b32 exec_lo, exec_lo, vcc_lo
	s_cbranch_execz .LBB20_91
; %bb.84:
	v_cmp_gt_u32_e32 vcc_lo, 0xde, v0
	ds_store_b32 v15, v1 offset:148
	s_and_b32 exec_lo, exec_lo, vcc_lo
	s_cbranch_execz .LBB20_91
; %bb.85:
	v_mov_b32_e32 v1, 0
	v_cmp_gt_u32_e32 vcc_lo, 0xb9, v0
	ds_store_b32 v15, v1 offset:296
	s_and_b32 exec_lo, exec_lo, vcc_lo
	s_cbranch_execz .LBB20_91
; %bb.86:
	v_cmp_gt_u32_e32 vcc_lo, 0x94, v0
	ds_store_b32 v15, v1 offset:444
	s_and_b32 exec_lo, exec_lo, vcc_lo
	s_cbranch_execz .LBB20_91
; %bb.87:
	v_mov_b32_e32 v1, 0
	v_cmp_gt_u32_e32 vcc_lo, 0x6f, v0
	ds_store_b32 v15, v1 offset:592
	;; [unrolled: 11-line block ×3, first 2 shown]
	s_and_b32 exec_lo, exec_lo, vcc_lo
	s_cbranch_execz .LBB20_91
; %bb.90:
	ds_store_b32 v15, v1 offset:1036
.LBB20_91:
	s_or_b32 exec_lo, exec_lo, s11
	v_lshrrev_b32_e32 v1, 16, v16
	v_cmp_ne_u32_e32 vcc_lo, 0x7fffffff, v16
	s_delay_alu instid0(VALU_DEP_2) | instskip(NEXT) | instid1(VALU_DEP_1)
	v_cndmask_b32_e32 v1, 0x8000, v1, vcc_lo
	v_and_b32_e32 v2, 7, v1
	v_lshrrev_b32_e32 v1, 2, v1
	s_delay_alu instid0(VALU_DEP_2) | instskip(NEXT) | instid1(VALU_DEP_2)
	v_mad_u32_u24 v2, v2, 37, v0
	v_and_b32_e32 v1, 2, v1
	s_delay_alu instid0(VALU_DEP_1)
	v_lshl_or_b32 v17, v2, 2, v1
	ds_load_u16 v18, v17
	s_waitcnt lgkmcnt(0)
	v_add_nc_u16 v1, v18, 1
	ds_store_b16 v17, v1
	s_waitcnt lgkmcnt(0)
	s_barrier
	buffer_gl0_inv
	ds_load_2addr_b64 v[5:8], v11 offset1:1
	ds_load_2addr_b64 v[1:4], v11 offset0:2 offset1:3
	s_waitcnt lgkmcnt(1)
	v_add_nc_u32_e32 v19, v6, v5
	s_delay_alu instid0(VALU_DEP_1) | instskip(SKIP_1) | instid1(VALU_DEP_1)
	v_add3_u32 v19, v19, v7, v8
	s_waitcnt lgkmcnt(0)
	v_add3_u32 v19, v19, v1, v2
	s_delay_alu instid0(VALU_DEP_1) | instskip(NEXT) | instid1(VALU_DEP_1)
	v_add3_u32 v4, v19, v3, v4
	v_mov_b32_dpp v19, v4 row_shr:1 row_mask:0xf bank_mask:0xf
	s_delay_alu instid0(VALU_DEP_1) | instskip(NEXT) | instid1(VALU_DEP_1)
	v_cndmask_b32_e64 v19, v19, 0, s8
	v_add_nc_u32_e32 v4, v19, v4
	s_delay_alu instid0(VALU_DEP_1) | instskip(NEXT) | instid1(VALU_DEP_1)
	v_mov_b32_dpp v19, v4 row_shr:2 row_mask:0xf bank_mask:0xf
	v_cndmask_b32_e64 v19, 0, v19, s7
	s_delay_alu instid0(VALU_DEP_1) | instskip(NEXT) | instid1(VALU_DEP_1)
	v_add_nc_u32_e32 v4, v4, v19
	v_mov_b32_dpp v19, v4 row_shr:4 row_mask:0xf bank_mask:0xf
	s_delay_alu instid0(VALU_DEP_1) | instskip(NEXT) | instid1(VALU_DEP_1)
	v_cndmask_b32_e64 v19, 0, v19, s6
	v_add_nc_u32_e32 v4, v4, v19
	s_delay_alu instid0(VALU_DEP_1) | instskip(NEXT) | instid1(VALU_DEP_1)
	v_mov_b32_dpp v19, v4 row_shr:8 row_mask:0xf bank_mask:0xf
	v_cndmask_b32_e64 v19, 0, v19, s5
	s_delay_alu instid0(VALU_DEP_1) | instskip(SKIP_3) | instid1(VALU_DEP_1)
	v_add_nc_u32_e32 v4, v4, v19
	ds_swizzle_b32 v19, v4 offset:swizzle(BROADCAST,32,15)
	s_waitcnt lgkmcnt(0)
	v_cndmask_b32_e64 v19, v19, 0, s4
	v_add_nc_u32_e32 v4, v4, v19
	s_and_saveexec_b32 s11, s9
	s_cbranch_execz .LBB20_93
; %bb.92:
	ds_store_b32 v13, v4 offset:1184
.LBB20_93:
	s_or_b32 exec_lo, exec_lo, s11
	s_waitcnt lgkmcnt(0)
	s_barrier
	buffer_gl0_inv
	s_and_saveexec_b32 s11, s2
	s_cbranch_execz .LBB20_95
; %bb.94:
	ds_load_b32 v19, v12 offset:1184
	s_waitcnt lgkmcnt(0)
	v_mov_b32_dpp v20, v19 row_shr:1 row_mask:0xf bank_mask:0xf
	s_delay_alu instid0(VALU_DEP_1) | instskip(NEXT) | instid1(VALU_DEP_1)
	v_cndmask_b32_e64 v20, v20, 0, s3
	v_add_nc_u32_e32 v19, v20, v19
	ds_store_b32 v12, v19 offset:1184
.LBB20_95:
	s_or_b32 exec_lo, exec_lo, s11
	v_dual_mov_b32 v19, 0 :: v_dual_mov_b32 v20, 0
	s_waitcnt lgkmcnt(0)
	s_barrier
	buffer_gl0_inv
	s_and_saveexec_b32 s11, s1
	s_cbranch_execz .LBB20_97
; %bb.96:
	ds_load_b32 v20, v13 offset:1180
.LBB20_97:
	s_or_b32 exec_lo, exec_lo, s11
	s_waitcnt lgkmcnt(0)
	v_add_nc_u32_e32 v4, v20, v4
	ds_load_b32 v19, v19 offset:1188
	ds_bpermute_b32 v4, v14, v4
	s_waitcnt lgkmcnt(0)
	v_cndmask_b32_e64 v4, v4, v20, s0
	s_delay_alu instid0(VALU_DEP_1) | instskip(NEXT) | instid1(VALU_DEP_1)
	v_lshl_add_u32 v4, v19, 16, v4
	v_add_nc_u32_e32 v5, v4, v5
	s_delay_alu instid0(VALU_DEP_1) | instskip(NEXT) | instid1(VALU_DEP_1)
	v_add_nc_u32_e32 v6, v5, v6
	v_add_nc_u32_e32 v7, v6, v7
	s_delay_alu instid0(VALU_DEP_1) | instskip(NEXT) | instid1(VALU_DEP_1)
	v_add_nc_u32_e32 v19, v7, v8
	;; [unrolled: 3-line block ×3, first 2 shown]
	v_add_nc_u32_e32 v2, v1, v3
	ds_store_2addr_b64 v11, v[4:5], v[6:7] offset1:1
	ds_store_2addr_b64 v11, v[19:20], v[1:2] offset0:2 offset1:3
	s_waitcnt lgkmcnt(0)
	s_barrier
	buffer_gl0_inv
	ds_load_u16 v1, v17
	v_and_b32_e32 v2, 0xffff, v18
	s_waitcnt lgkmcnt(0)
	s_barrier
	buffer_gl0_inv
	v_lshlrev_b32_e32 v2, 2, v2
	s_delay_alu instid0(VALU_DEP_1)
	v_lshl_add_u32 v1, v1, 2, v2
	ds_store_b32 v1, v16
	s_waitcnt lgkmcnt(0)
	s_barrier
	buffer_gl0_inv
	ds_load_b32 v16, v12
	s_waitcnt lgkmcnt(0)
	s_barrier
	buffer_gl0_inv
	s_and_saveexec_b32 s11, s10
	s_cbranch_execz .LBB20_106
; %bb.98:
	v_mov_b32_e32 v1, 0
	v_cmp_gt_u32_e32 vcc_lo, 0x103, v0
	ds_store_b32 v15, v1
	s_and_b32 exec_lo, exec_lo, vcc_lo
	s_cbranch_execz .LBB20_106
; %bb.99:
	v_cmp_gt_u32_e32 vcc_lo, 0xde, v0
	ds_store_b32 v15, v1 offset:148
	s_and_b32 exec_lo, exec_lo, vcc_lo
	s_cbranch_execz .LBB20_106
; %bb.100:
	v_mov_b32_e32 v1, 0
	v_cmp_gt_u32_e32 vcc_lo, 0xb9, v0
	ds_store_b32 v15, v1 offset:296
	s_and_b32 exec_lo, exec_lo, vcc_lo
	s_cbranch_execz .LBB20_106
; %bb.101:
	v_cmp_gt_u32_e32 vcc_lo, 0x94, v0
	ds_store_b32 v15, v1 offset:444
	s_and_b32 exec_lo, exec_lo, vcc_lo
	s_cbranch_execz .LBB20_106
; %bb.102:
	v_mov_b32_e32 v1, 0
	v_cmp_gt_u32_e32 vcc_lo, 0x6f, v0
	ds_store_b32 v15, v1 offset:592
	;; [unrolled: 11-line block ×3, first 2 shown]
	s_and_b32 exec_lo, exec_lo, vcc_lo
	s_cbranch_execz .LBB20_106
; %bb.105:
	ds_store_b32 v15, v1 offset:1036
.LBB20_106:
	s_or_b32 exec_lo, exec_lo, s11
	v_lshrrev_b32_e32 v1, 20, v16
	v_cmp_ne_u32_e32 vcc_lo, 0x7fffffff, v16
	s_delay_alu instid0(VALU_DEP_2) | instskip(NEXT) | instid1(VALU_DEP_1)
	v_cndmask_b32_e32 v1, 0x800, v1, vcc_lo
	v_and_b32_e32 v2, 7, v1
	v_lshrrev_b32_e32 v1, 2, v1
	s_delay_alu instid0(VALU_DEP_2) | instskip(NEXT) | instid1(VALU_DEP_2)
	v_mad_u32_u24 v2, v2, 37, v0
	v_and_b32_e32 v1, 2, v1
	s_delay_alu instid0(VALU_DEP_1)
	v_lshl_or_b32 v17, v2, 2, v1
	ds_load_u16 v18, v17
	s_waitcnt lgkmcnt(0)
	v_add_nc_u16 v1, v18, 1
	ds_store_b16 v17, v1
	s_waitcnt lgkmcnt(0)
	s_barrier
	buffer_gl0_inv
	ds_load_2addr_b64 v[5:8], v11 offset1:1
	ds_load_2addr_b64 v[1:4], v11 offset0:2 offset1:3
	s_waitcnt lgkmcnt(1)
	v_add_nc_u32_e32 v19, v6, v5
	s_delay_alu instid0(VALU_DEP_1) | instskip(SKIP_1) | instid1(VALU_DEP_1)
	v_add3_u32 v19, v19, v7, v8
	s_waitcnt lgkmcnt(0)
	v_add3_u32 v19, v19, v1, v2
	s_delay_alu instid0(VALU_DEP_1) | instskip(NEXT) | instid1(VALU_DEP_1)
	v_add3_u32 v4, v19, v3, v4
	v_mov_b32_dpp v19, v4 row_shr:1 row_mask:0xf bank_mask:0xf
	s_delay_alu instid0(VALU_DEP_1) | instskip(NEXT) | instid1(VALU_DEP_1)
	v_cndmask_b32_e64 v19, v19, 0, s8
	v_add_nc_u32_e32 v4, v19, v4
	s_delay_alu instid0(VALU_DEP_1) | instskip(NEXT) | instid1(VALU_DEP_1)
	v_mov_b32_dpp v19, v4 row_shr:2 row_mask:0xf bank_mask:0xf
	v_cndmask_b32_e64 v19, 0, v19, s7
	s_delay_alu instid0(VALU_DEP_1) | instskip(NEXT) | instid1(VALU_DEP_1)
	v_add_nc_u32_e32 v4, v4, v19
	v_mov_b32_dpp v19, v4 row_shr:4 row_mask:0xf bank_mask:0xf
	s_delay_alu instid0(VALU_DEP_1) | instskip(NEXT) | instid1(VALU_DEP_1)
	v_cndmask_b32_e64 v19, 0, v19, s6
	v_add_nc_u32_e32 v4, v4, v19
	s_delay_alu instid0(VALU_DEP_1) | instskip(NEXT) | instid1(VALU_DEP_1)
	v_mov_b32_dpp v19, v4 row_shr:8 row_mask:0xf bank_mask:0xf
	v_cndmask_b32_e64 v19, 0, v19, s5
	s_delay_alu instid0(VALU_DEP_1) | instskip(SKIP_3) | instid1(VALU_DEP_1)
	v_add_nc_u32_e32 v4, v4, v19
	ds_swizzle_b32 v19, v4 offset:swizzle(BROADCAST,32,15)
	s_waitcnt lgkmcnt(0)
	v_cndmask_b32_e64 v19, v19, 0, s4
	v_add_nc_u32_e32 v4, v4, v19
	s_and_saveexec_b32 s11, s9
	s_cbranch_execz .LBB20_108
; %bb.107:
	ds_store_b32 v13, v4 offset:1184
.LBB20_108:
	s_or_b32 exec_lo, exec_lo, s11
	s_waitcnt lgkmcnt(0)
	s_barrier
	buffer_gl0_inv
	s_and_saveexec_b32 s11, s2
	s_cbranch_execz .LBB20_110
; %bb.109:
	ds_load_b32 v19, v12 offset:1184
	s_waitcnt lgkmcnt(0)
	v_mov_b32_dpp v20, v19 row_shr:1 row_mask:0xf bank_mask:0xf
	s_delay_alu instid0(VALU_DEP_1) | instskip(NEXT) | instid1(VALU_DEP_1)
	v_cndmask_b32_e64 v20, v20, 0, s3
	v_add_nc_u32_e32 v19, v20, v19
	ds_store_b32 v12, v19 offset:1184
.LBB20_110:
	s_or_b32 exec_lo, exec_lo, s11
	v_dual_mov_b32 v19, 0 :: v_dual_mov_b32 v20, 0
	s_waitcnt lgkmcnt(0)
	s_barrier
	buffer_gl0_inv
	s_and_saveexec_b32 s11, s1
	s_cbranch_execz .LBB20_112
; %bb.111:
	ds_load_b32 v20, v13 offset:1180
.LBB20_112:
	s_or_b32 exec_lo, exec_lo, s11
	s_waitcnt lgkmcnt(0)
	v_add_nc_u32_e32 v4, v20, v4
	ds_load_b32 v19, v19 offset:1188
	ds_bpermute_b32 v4, v14, v4
	s_waitcnt lgkmcnt(0)
	v_cndmask_b32_e64 v4, v4, v20, s0
	s_delay_alu instid0(VALU_DEP_1) | instskip(NEXT) | instid1(VALU_DEP_1)
	v_lshl_add_u32 v4, v19, 16, v4
	v_add_nc_u32_e32 v5, v4, v5
	s_delay_alu instid0(VALU_DEP_1) | instskip(NEXT) | instid1(VALU_DEP_1)
	v_add_nc_u32_e32 v6, v5, v6
	v_add_nc_u32_e32 v7, v6, v7
	s_delay_alu instid0(VALU_DEP_1) | instskip(NEXT) | instid1(VALU_DEP_1)
	v_add_nc_u32_e32 v19, v7, v8
	v_add_nc_u32_e32 v20, v19, v1
	s_delay_alu instid0(VALU_DEP_1) | instskip(NEXT) | instid1(VALU_DEP_1)
	v_add_nc_u32_e32 v1, v20, v2
	v_add_nc_u32_e32 v2, v1, v3
	ds_store_2addr_b64 v11, v[4:5], v[6:7] offset1:1
	ds_store_2addr_b64 v11, v[19:20], v[1:2] offset0:2 offset1:3
	s_waitcnt lgkmcnt(0)
	s_barrier
	buffer_gl0_inv
	ds_load_u16 v1, v17
	v_and_b32_e32 v2, 0xffff, v18
	s_waitcnt lgkmcnt(0)
	s_barrier
	buffer_gl0_inv
	v_lshlrev_b32_e32 v2, 2, v2
	s_delay_alu instid0(VALU_DEP_1)
	v_lshl_add_u32 v1, v1, 2, v2
	ds_store_b32 v1, v16
	s_waitcnt lgkmcnt(0)
	s_barrier
	buffer_gl0_inv
	ds_load_b32 v16, v12
	s_waitcnt lgkmcnt(0)
	s_barrier
	buffer_gl0_inv
	s_and_saveexec_b32 s11, s10
	s_cbranch_execz .LBB20_121
; %bb.113:
	v_mov_b32_e32 v1, 0
	v_cmp_gt_u32_e32 vcc_lo, 0x103, v0
	ds_store_b32 v15, v1
	s_and_b32 exec_lo, exec_lo, vcc_lo
	s_cbranch_execz .LBB20_121
; %bb.114:
	v_cmp_gt_u32_e32 vcc_lo, 0xde, v0
	ds_store_b32 v15, v1 offset:148
	s_and_b32 exec_lo, exec_lo, vcc_lo
	s_cbranch_execz .LBB20_121
; %bb.115:
	v_mov_b32_e32 v1, 0
	v_cmp_gt_u32_e32 vcc_lo, 0xb9, v0
	ds_store_b32 v15, v1 offset:296
	s_and_b32 exec_lo, exec_lo, vcc_lo
	s_cbranch_execz .LBB20_121
; %bb.116:
	v_cmp_gt_u32_e32 vcc_lo, 0x94, v0
	ds_store_b32 v15, v1 offset:444
	s_and_b32 exec_lo, exec_lo, vcc_lo
	s_cbranch_execz .LBB20_121
; %bb.117:
	v_mov_b32_e32 v1, 0
	v_cmp_gt_u32_e32 vcc_lo, 0x6f, v0
	ds_store_b32 v15, v1 offset:592
	;; [unrolled: 11-line block ×3, first 2 shown]
	s_and_b32 exec_lo, exec_lo, vcc_lo
	s_cbranch_execz .LBB20_121
; %bb.120:
	ds_store_b32 v15, v1 offset:1036
.LBB20_121:
	s_or_b32 exec_lo, exec_lo, s11
	v_lshrrev_b32_e32 v1, 24, v16
	v_cmp_ne_u32_e32 vcc_lo, 0x7fffffff, v16
	s_delay_alu instid0(VALU_DEP_2) | instskip(NEXT) | instid1(VALU_DEP_1)
	v_cndmask_b32_e32 v1, 0x80, v1, vcc_lo
	v_and_b32_e32 v2, 7, v1
	v_lshrrev_b32_e32 v1, 2, v1
	s_delay_alu instid0(VALU_DEP_2) | instskip(NEXT) | instid1(VALU_DEP_2)
	v_mad_u32_u24 v2, v2, 37, v0
	v_and_b32_e32 v1, 2, v1
	s_delay_alu instid0(VALU_DEP_1)
	v_lshl_or_b32 v17, v2, 2, v1
	ds_load_u16 v18, v17
	s_waitcnt lgkmcnt(0)
	v_add_nc_u16 v1, v18, 1
	ds_store_b16 v17, v1
	s_waitcnt lgkmcnt(0)
	s_barrier
	buffer_gl0_inv
	ds_load_2addr_b64 v[5:8], v11 offset1:1
	ds_load_2addr_b64 v[1:4], v11 offset0:2 offset1:3
	s_waitcnt lgkmcnt(1)
	v_add_nc_u32_e32 v19, v6, v5
	s_delay_alu instid0(VALU_DEP_1) | instskip(SKIP_1) | instid1(VALU_DEP_1)
	v_add3_u32 v19, v19, v7, v8
	s_waitcnt lgkmcnt(0)
	v_add3_u32 v19, v19, v1, v2
	s_delay_alu instid0(VALU_DEP_1) | instskip(NEXT) | instid1(VALU_DEP_1)
	v_add3_u32 v4, v19, v3, v4
	v_mov_b32_dpp v19, v4 row_shr:1 row_mask:0xf bank_mask:0xf
	s_delay_alu instid0(VALU_DEP_1) | instskip(NEXT) | instid1(VALU_DEP_1)
	v_cndmask_b32_e64 v19, v19, 0, s8
	v_add_nc_u32_e32 v4, v19, v4
	s_delay_alu instid0(VALU_DEP_1) | instskip(NEXT) | instid1(VALU_DEP_1)
	v_mov_b32_dpp v19, v4 row_shr:2 row_mask:0xf bank_mask:0xf
	v_cndmask_b32_e64 v19, 0, v19, s7
	s_delay_alu instid0(VALU_DEP_1) | instskip(NEXT) | instid1(VALU_DEP_1)
	v_add_nc_u32_e32 v4, v4, v19
	v_mov_b32_dpp v19, v4 row_shr:4 row_mask:0xf bank_mask:0xf
	s_delay_alu instid0(VALU_DEP_1) | instskip(NEXT) | instid1(VALU_DEP_1)
	v_cndmask_b32_e64 v19, 0, v19, s6
	v_add_nc_u32_e32 v4, v4, v19
	s_delay_alu instid0(VALU_DEP_1) | instskip(NEXT) | instid1(VALU_DEP_1)
	v_mov_b32_dpp v19, v4 row_shr:8 row_mask:0xf bank_mask:0xf
	v_cndmask_b32_e64 v19, 0, v19, s5
	s_delay_alu instid0(VALU_DEP_1) | instskip(SKIP_3) | instid1(VALU_DEP_1)
	v_add_nc_u32_e32 v4, v4, v19
	ds_swizzle_b32 v19, v4 offset:swizzle(BROADCAST,32,15)
	s_waitcnt lgkmcnt(0)
	v_cndmask_b32_e64 v19, v19, 0, s4
	v_add_nc_u32_e32 v4, v4, v19
	s_and_saveexec_b32 s11, s9
	s_cbranch_execz .LBB20_123
; %bb.122:
	ds_store_b32 v13, v4 offset:1184
.LBB20_123:
	s_or_b32 exec_lo, exec_lo, s11
	s_waitcnt lgkmcnt(0)
	s_barrier
	buffer_gl0_inv
	s_and_saveexec_b32 s11, s2
	s_cbranch_execz .LBB20_125
; %bb.124:
	ds_load_b32 v19, v12 offset:1184
	s_waitcnt lgkmcnt(0)
	v_mov_b32_dpp v20, v19 row_shr:1 row_mask:0xf bank_mask:0xf
	s_delay_alu instid0(VALU_DEP_1) | instskip(NEXT) | instid1(VALU_DEP_1)
	v_cndmask_b32_e64 v20, v20, 0, s3
	v_add_nc_u32_e32 v19, v20, v19
	ds_store_b32 v12, v19 offset:1184
.LBB20_125:
	s_or_b32 exec_lo, exec_lo, s11
	v_dual_mov_b32 v19, 0 :: v_dual_mov_b32 v20, 0
	s_waitcnt lgkmcnt(0)
	s_barrier
	buffer_gl0_inv
	s_and_saveexec_b32 s11, s1
	s_cbranch_execz .LBB20_127
; %bb.126:
	ds_load_b32 v20, v13 offset:1180
.LBB20_127:
	s_or_b32 exec_lo, exec_lo, s11
	s_waitcnt lgkmcnt(0)
	v_add_nc_u32_e32 v4, v20, v4
	ds_load_b32 v19, v19 offset:1188
	ds_bpermute_b32 v4, v14, v4
	s_waitcnt lgkmcnt(0)
	v_cndmask_b32_e64 v4, v4, v20, s0
	s_delay_alu instid0(VALU_DEP_1) | instskip(NEXT) | instid1(VALU_DEP_1)
	v_lshl_add_u32 v4, v19, 16, v4
	v_add_nc_u32_e32 v5, v4, v5
	s_delay_alu instid0(VALU_DEP_1) | instskip(NEXT) | instid1(VALU_DEP_1)
	v_add_nc_u32_e32 v6, v5, v6
	v_add_nc_u32_e32 v7, v6, v7
	s_delay_alu instid0(VALU_DEP_1) | instskip(NEXT) | instid1(VALU_DEP_1)
	v_add_nc_u32_e32 v19, v7, v8
	;; [unrolled: 3-line block ×3, first 2 shown]
	v_add_nc_u32_e32 v2, v1, v3
	ds_store_2addr_b64 v11, v[4:5], v[6:7] offset1:1
	ds_store_2addr_b64 v11, v[19:20], v[1:2] offset0:2 offset1:3
	s_waitcnt lgkmcnt(0)
	s_barrier
	buffer_gl0_inv
	ds_load_u16 v1, v17
	v_and_b32_e32 v2, 0xffff, v18
	s_waitcnt lgkmcnt(0)
	s_barrier
	buffer_gl0_inv
	v_lshlrev_b32_e32 v2, 2, v2
	s_delay_alu instid0(VALU_DEP_1)
	v_lshl_add_u32 v1, v1, 2, v2
	ds_store_b32 v1, v16
	s_waitcnt lgkmcnt(0)
	s_barrier
	buffer_gl0_inv
	ds_load_b32 v8, v12
	s_waitcnt lgkmcnt(0)
	s_barrier
	buffer_gl0_inv
	s_and_saveexec_b32 s11, s10
	s_cbranch_execz .LBB20_136
; %bb.128:
	v_mov_b32_e32 v1, 0
	v_cmp_gt_u32_e32 vcc_lo, 0x103, v0
	ds_store_b32 v15, v1
	s_and_b32 exec_lo, exec_lo, vcc_lo
	s_cbranch_execz .LBB20_136
; %bb.129:
	v_cmp_gt_u32_e32 vcc_lo, 0xde, v0
	ds_store_b32 v15, v1 offset:148
	s_and_b32 exec_lo, exec_lo, vcc_lo
	s_cbranch_execz .LBB20_136
; %bb.130:
	v_mov_b32_e32 v1, 0
	v_cmp_gt_u32_e32 vcc_lo, 0xb9, v0
	ds_store_b32 v15, v1 offset:296
	s_and_b32 exec_lo, exec_lo, vcc_lo
	s_cbranch_execz .LBB20_136
; %bb.131:
	v_cmp_gt_u32_e32 vcc_lo, 0x94, v0
	ds_store_b32 v15, v1 offset:444
	s_and_b32 exec_lo, exec_lo, vcc_lo
	s_cbranch_execz .LBB20_136
; %bb.132:
	v_mov_b32_e32 v1, 0
	v_cmp_gt_u32_e32 vcc_lo, 0x6f, v0
	ds_store_b32 v15, v1 offset:592
	;; [unrolled: 11-line block ×3, first 2 shown]
	s_and_b32 exec_lo, exec_lo, vcc_lo
	s_cbranch_execz .LBB20_136
; %bb.135:
	ds_store_b32 v15, v1 offset:1036
.LBB20_136:
	s_or_b32 exec_lo, exec_lo, s11
	v_lshrrev_b32_e32 v1, 28, v8
	v_cmp_ne_u32_e32 vcc_lo, 0x7fffffff, v8
	s_delay_alu instid0(VALU_DEP_2) | instskip(NEXT) | instid1(VALU_DEP_1)
	v_cndmask_b32_e32 v1, 8, v1, vcc_lo
	v_and_b32_e32 v2, 7, v1
	v_lshrrev_b32_e32 v1, 2, v1
	s_delay_alu instid0(VALU_DEP_2) | instskip(NEXT) | instid1(VALU_DEP_2)
	v_mad_u32_u24 v0, v2, 37, v0
	v_and_b32_e32 v1, 2, v1
	s_delay_alu instid0(VALU_DEP_1)
	v_lshl_or_b32 v15, v0, 2, v1
	ds_load_u16 v16, v15
	s_waitcnt lgkmcnt(0)
	v_add_nc_u16 v0, v16, 1
	ds_store_b16 v15, v0
	s_waitcnt lgkmcnt(0)
	s_barrier
	buffer_gl0_inv
	ds_load_2addr_b64 v[4:7], v11 offset1:1
	ds_load_2addr_b64 v[0:3], v11 offset0:2 offset1:3
	s_waitcnt lgkmcnt(1)
	v_add_nc_u32_e32 v17, v5, v4
	s_delay_alu instid0(VALU_DEP_1) | instskip(SKIP_1) | instid1(VALU_DEP_1)
	v_add3_u32 v17, v17, v6, v7
	s_waitcnt lgkmcnt(0)
	v_add3_u32 v17, v17, v0, v1
	s_delay_alu instid0(VALU_DEP_1) | instskip(NEXT) | instid1(VALU_DEP_1)
	v_add3_u32 v3, v17, v2, v3
	v_mov_b32_dpp v17, v3 row_shr:1 row_mask:0xf bank_mask:0xf
	s_delay_alu instid0(VALU_DEP_1) | instskip(NEXT) | instid1(VALU_DEP_1)
	v_cndmask_b32_e64 v17, v17, 0, s8
	v_add_nc_u32_e32 v3, v17, v3
	s_delay_alu instid0(VALU_DEP_1) | instskip(NEXT) | instid1(VALU_DEP_1)
	v_mov_b32_dpp v17, v3 row_shr:2 row_mask:0xf bank_mask:0xf
	v_cndmask_b32_e64 v17, 0, v17, s7
	s_delay_alu instid0(VALU_DEP_1) | instskip(NEXT) | instid1(VALU_DEP_1)
	v_add_nc_u32_e32 v3, v3, v17
	v_mov_b32_dpp v17, v3 row_shr:4 row_mask:0xf bank_mask:0xf
	s_delay_alu instid0(VALU_DEP_1) | instskip(NEXT) | instid1(VALU_DEP_1)
	v_cndmask_b32_e64 v17, 0, v17, s6
	v_add_nc_u32_e32 v3, v3, v17
	s_delay_alu instid0(VALU_DEP_1) | instskip(NEXT) | instid1(VALU_DEP_1)
	v_mov_b32_dpp v17, v3 row_shr:8 row_mask:0xf bank_mask:0xf
	v_cndmask_b32_e64 v17, 0, v17, s5
	s_delay_alu instid0(VALU_DEP_1) | instskip(SKIP_3) | instid1(VALU_DEP_1)
	v_add_nc_u32_e32 v3, v3, v17
	ds_swizzle_b32 v17, v3 offset:swizzle(BROADCAST,32,15)
	s_waitcnt lgkmcnt(0)
	v_cndmask_b32_e64 v17, v17, 0, s4
	v_add_nc_u32_e32 v3, v3, v17
	s_and_saveexec_b32 s4, s9
	s_cbranch_execz .LBB20_138
; %bb.137:
	ds_store_b32 v13, v3 offset:1184
.LBB20_138:
	s_or_b32 exec_lo, exec_lo, s4
	s_waitcnt lgkmcnt(0)
	s_barrier
	buffer_gl0_inv
	s_and_saveexec_b32 s4, s2
	s_cbranch_execz .LBB20_140
; %bb.139:
	ds_load_b32 v17, v12 offset:1184
	s_waitcnt lgkmcnt(0)
	v_mov_b32_dpp v18, v17 row_shr:1 row_mask:0xf bank_mask:0xf
	s_delay_alu instid0(VALU_DEP_1) | instskip(NEXT) | instid1(VALU_DEP_1)
	v_cndmask_b32_e64 v18, v18, 0, s3
	v_add_nc_u32_e32 v17, v18, v17
	ds_store_b32 v12, v17 offset:1184
.LBB20_140:
	s_or_b32 exec_lo, exec_lo, s4
	v_dual_mov_b32 v17, 0 :: v_dual_mov_b32 v18, 0
	s_waitcnt lgkmcnt(0)
	s_barrier
	buffer_gl0_inv
	s_and_saveexec_b32 s2, s1
	s_cbranch_execz .LBB20_142
; %bb.141:
	ds_load_b32 v18, v13 offset:1180
.LBB20_142:
	s_or_b32 exec_lo, exec_lo, s2
	s_waitcnt lgkmcnt(0)
	v_add_nc_u32_e32 v3, v18, v3
	ds_load_b32 v13, v17 offset:1188
	ds_bpermute_b32 v3, v14, v3
	s_waitcnt lgkmcnt(0)
	v_cndmask_b32_e64 v3, v3, v18, s0
	s_delay_alu instid0(VALU_DEP_1) | instskip(NEXT) | instid1(VALU_DEP_1)
	v_lshl_add_u32 v3, v13, 16, v3
	v_add_nc_u32_e32 v4, v3, v4
	s_delay_alu instid0(VALU_DEP_1) | instskip(NEXT) | instid1(VALU_DEP_1)
	v_add_nc_u32_e32 v5, v4, v5
	v_add_nc_u32_e32 v6, v5, v6
	s_delay_alu instid0(VALU_DEP_1) | instskip(NEXT) | instid1(VALU_DEP_1)
	v_add_nc_u32_e32 v13, v6, v7
	;; [unrolled: 3-line block ×3, first 2 shown]
	v_add_nc_u32_e32 v1, v0, v2
	ds_store_2addr_b64 v11, v[3:4], v[5:6] offset1:1
	ds_store_2addr_b64 v11, v[13:14], v[0:1] offset0:2 offset1:3
	s_waitcnt lgkmcnt(0)
	s_barrier
	buffer_gl0_inv
	ds_load_u16 v0, v15
	v_and_b32_e32 v1, 0xffff, v16
	s_waitcnt lgkmcnt(0)
	s_barrier
	buffer_gl0_inv
	v_lshlrev_b32_e32 v1, 2, v1
	s_delay_alu instid0(VALU_DEP_1)
	v_lshl_add_u32 v0, v0, 2, v1
	ds_store_b32 v0, v8
	s_waitcnt lgkmcnt(0)
	s_barrier
.LBB20_143:
	buffer_gl0_inv
	ds_load_b32 v0, v12
	s_waitcnt lgkmcnt(0)
	v_cmp_lt_i32_e32 vcc_lo, -1, v0
	v_cndmask_b32_e64 v1, 0x80000000, -1, vcc_lo
	s_delay_alu instid0(VALU_DEP_1)
	v_xor_b32_e32 v0, v1, v0
	global_store_b32 v[9:10], v0, off
	s_nop 0
	s_sendmsg sendmsg(MSG_DEALLOC_VGPRS)
	s_endpgm
	.section	.rodata,"a",@progbits
	.p2align	6, 0x0
	.amdhsa_kernel _Z15sort_key_kernelILj37ELj1ELb0ELb0EfEvPT3_jj
		.amdhsa_group_segment_fixed_size 1200
		.amdhsa_private_segment_fixed_size 0
		.amdhsa_kernarg_size 16
		.amdhsa_user_sgpr_count 15
		.amdhsa_user_sgpr_dispatch_ptr 0
		.amdhsa_user_sgpr_queue_ptr 0
		.amdhsa_user_sgpr_kernarg_segment_ptr 1
		.amdhsa_user_sgpr_dispatch_id 0
		.amdhsa_user_sgpr_private_segment_size 0
		.amdhsa_wavefront_size32 1
		.amdhsa_uses_dynamic_stack 0
		.amdhsa_enable_private_segment 0
		.amdhsa_system_sgpr_workgroup_id_x 1
		.amdhsa_system_sgpr_workgroup_id_y 0
		.amdhsa_system_sgpr_workgroup_id_z 0
		.amdhsa_system_sgpr_workgroup_info 0
		.amdhsa_system_vgpr_workitem_id 0
		.amdhsa_next_free_vgpr 23
		.amdhsa_next_free_sgpr 22
		.amdhsa_reserve_vcc 1
		.amdhsa_float_round_mode_32 0
		.amdhsa_float_round_mode_16_64 0
		.amdhsa_float_denorm_mode_32 3
		.amdhsa_float_denorm_mode_16_64 3
		.amdhsa_dx10_clamp 1
		.amdhsa_ieee_mode 1
		.amdhsa_fp16_overflow 0
		.amdhsa_workgroup_processor_mode 1
		.amdhsa_memory_ordered 1
		.amdhsa_forward_progress 0
		.amdhsa_shared_vgpr_count 0
		.amdhsa_exception_fp_ieee_invalid_op 0
		.amdhsa_exception_fp_denorm_src 0
		.amdhsa_exception_fp_ieee_div_zero 0
		.amdhsa_exception_fp_ieee_overflow 0
		.amdhsa_exception_fp_ieee_underflow 0
		.amdhsa_exception_fp_ieee_inexact 0
		.amdhsa_exception_int_div_zero 0
	.end_amdhsa_kernel
	.section	.text._Z15sort_key_kernelILj37ELj1ELb0ELb0EfEvPT3_jj,"axG",@progbits,_Z15sort_key_kernelILj37ELj1ELb0ELb0EfEvPT3_jj,comdat
.Lfunc_end20:
	.size	_Z15sort_key_kernelILj37ELj1ELb0ELb0EfEvPT3_jj, .Lfunc_end20-_Z15sort_key_kernelILj37ELj1ELb0ELb0EfEvPT3_jj
                                        ; -- End function
	.section	.AMDGPU.csdata,"",@progbits
; Kernel info:
; codeLenInByte = 8012
; NumSgprs: 24
; NumVgprs: 23
; ScratchSize: 0
; MemoryBound: 0
; FloatMode: 240
; IeeeMode: 1
; LDSByteSize: 1200 bytes/workgroup (compile time only)
; SGPRBlocks: 2
; VGPRBlocks: 2
; NumSGPRsForWavesPerEU: 24
; NumVGPRsForWavesPerEU: 23
; Occupancy: 16
; WaveLimiterHint : 0
; COMPUTE_PGM_RSRC2:SCRATCH_EN: 0
; COMPUTE_PGM_RSRC2:USER_SGPR: 15
; COMPUTE_PGM_RSRC2:TRAP_HANDLER: 0
; COMPUTE_PGM_RSRC2:TGID_X_EN: 1
; COMPUTE_PGM_RSRC2:TGID_Y_EN: 0
; COMPUTE_PGM_RSRC2:TGID_Z_EN: 0
; COMPUTE_PGM_RSRC2:TIDIG_COMP_CNT: 0
	.section	.text._Z15sort_key_kernelILj65ELj1ELb0ELb0EdEvPT3_jj,"axG",@progbits,_Z15sort_key_kernelILj65ELj1ELb0ELb0EdEvPT3_jj,comdat
	.protected	_Z15sort_key_kernelILj65ELj1ELb0ELb0EdEvPT3_jj ; -- Begin function _Z15sort_key_kernelILj65ELj1ELb0ELb0EdEvPT3_jj
	.globl	_Z15sort_key_kernelILj65ELj1ELb0ELb0EdEvPT3_jj
	.p2align	8
	.type	_Z15sort_key_kernelILj65ELj1ELb0ELb0EdEvPT3_jj,@function
_Z15sort_key_kernelILj65ELj1ELb0ELb0EdEvPT3_jj: ; @_Z15sort_key_kernelILj65ELj1ELb0ELb0EdEvPT3_jj
; %bb.0:
	s_load_b128 s[20:23], s[0:1], 0x0
	s_mov_b32 s1, 0
	s_mul_i32 s0, s15, 0x41
	v_lshlrev_b32_e32 v3, 3, v0
	s_lshl_b64 s[0:1], s[0:1], 3
	v_mbcnt_lo_u32_b32 v4, -1, 0
	v_and_b32_e32 v7, 0x60, v0
	v_lshrrev_b32_e32 v9, 3, v0
	v_lshlrev_b32_e32 v15, 5, v0
	v_lshlrev_b32_e32 v20, 2, v0
	v_add_nc_u32_e32 v8, -1, v4
	v_and_b32_e32 v5, 15, v4
	v_and_b32_e32 v6, 16, v4
	v_cmp_eq_u32_e64 s3, 0, v4
	v_and_b32_e32 v10, 3, v4
	v_cmp_gt_i32_e32 vcc_lo, 0, v8
	v_cmp_eq_u32_e64 s4, 0, v5
	v_cmp_lt_u32_e64 s5, 1, v5
	v_cmp_lt_u32_e64 s6, 3, v5
	;; [unrolled: 1-line block ×3, first 2 shown]
	s_waitcnt lgkmcnt(0)
	s_add_u32 s18, s20, s0
	s_addc_u32 s19, s21, s1
	v_min_u32_e32 v5, 33, v7
	global_load_b64 v[1:2], v3, s[18:19]
	v_dual_cndmask_b32 v4, v8, v4 :: v_dual_and_b32 v17, 12, v9
	v_mad_i32_i24 v18, 0xffffffe4, v0, v15
	v_add_nc_u32_e32 v5, 31, v5
	s_cmp_eq_u32 s22, 0
	s_delay_alu instid0(VALU_DEP_3)
	v_lshlrev_b32_e32 v19, 2, v4
	s_cselect_b32 s20, -1, 0
	s_cmp_eq_u32 s23, 64
	v_cmp_eq_u32_e64 s11, v5, v0
	v_add_co_u32 v9, s18, s18, v3
	s_cselect_b32 s21, -1, 0
	v_cmp_gt_u32_e64 s0, 0x208, v0
	v_cmp_gt_u32_e64 s1, 3, v0
	v_cmp_lt_u32_e64 s2, 31, v0
	v_cmp_gt_u32_e64 s12, 0x1c7, v0
	v_cmp_gt_u32_e64 s13, 0x186, v0
	;; [unrolled: 1-line block ×6, first 2 shown]
	v_cmp_eq_u32_e64 s8, 0, v6
	v_cmp_eq_u32_e64 s9, 0, v10
	v_cmp_lt_u32_e64 s10, 1, v10
	v_add_nc_u32_e32 v16, v18, v20
	v_add_co_ci_u32_e64 v10, null, s19, 0, s18
	v_cmp_gt_u32_e64 s18, 0x41, v0
	s_and_b32 s20, s20, s21
	s_mov_b32 s19, -1
	s_waitcnt vmcnt(0)
	v_cmp_lt_i64_e32 vcc_lo, -1, v[1:2]
	v_ashrrev_i32_e32 v5, 31, v2
	s_delay_alu instid0(VALU_DEP_1) | instskip(SKIP_2) | instid1(VALU_DEP_1)
	v_xor_b32_e32 v11, v5, v1
	v_cndmask_b32_e64 v4, -1, 0x80000000, vcc_lo
	s_and_b32 vcc_lo, exec_lo, s20
	v_xor_b32_e32 v12, v4, v2
	s_cbranch_vccnz .LBB21_21
; %bb.1:
	v_mov_b32_e32 v1, v11
	s_delay_alu instid0(VALU_DEP_2)
	v_dual_mov_b32 v21, 0 :: v_dual_mov_b32 v2, v12
	s_mov_b32 s20, -1
	s_brev_b32 s21, -2
	s_sub_i32 s19, s23, s22
	s_branch .LBB21_3
.LBB21_2:                               ;   in Loop: Header=BB21_3 Depth=1
	s_barrier
	buffer_gl0_inv
	ds_store_b64 v3, v[13:14]
	s_waitcnt lgkmcnt(0)
	s_barrier
	buffer_gl0_inv
	ds_load_b64 v[1:2], v16
	s_add_i32 s19, s19, -4
	s_waitcnt lgkmcnt(0)
	s_barrier
	buffer_gl0_inv
	s_cbranch_execz .LBB21_20
.LBB21_3:                               ; =>This Inner Loop Header: Depth=1
	v_dual_mov_b32 v14, v2 :: v_dual_mov_b32 v13, v1
	s_and_saveexec_b32 s24, s0
	s_cbranch_execz .LBB21_12
; %bb.4:                                ;   in Loop: Header=BB21_3 Depth=1
	ds_store_b32 v20, v21
	s_and_b32 exec_lo, exec_lo, s12
	s_cbranch_execz .LBB21_12
; %bb.5:                                ;   in Loop: Header=BB21_3 Depth=1
	ds_store_b32 v20, v21 offset:260
	s_and_b32 exec_lo, exec_lo, s13
	s_cbranch_execz .LBB21_12
; %bb.6:                                ;   in Loop: Header=BB21_3 Depth=1
	ds_store_b32 v20, v21 offset:520
	;; [unrolled: 4-line block ×5, first 2 shown]
	s_and_b32 exec_lo, exec_lo, s17
	s_cbranch_execz .LBB21_12
; %bb.10:                               ;   in Loop: Header=BB21_3 Depth=1
	ds_store_b32 v20, v21 offset:1560
	s_and_b32 exec_lo, exec_lo, s18
	s_cbranch_execz .LBB21_12
; %bb.11:                               ;   in Loop: Header=BB21_3 Depth=1
	ds_store_b32 v20, v21 offset:1820
.LBB21_12:                              ;   in Loop: Header=BB21_3 Depth=1
	s_or_b32 exec_lo, exec_lo, s24
	s_delay_alu instid0(VALU_DEP_1) | instskip(SKIP_3) | instid1(VALU_DEP_1)
	v_cmp_ne_u64_e32 vcc_lo, s[20:21], v[13:14]
	s_min_u32 s24, s19, 4
	v_cndmask_b32_e32 v2, 0x80000000, v14, vcc_lo
	v_cndmask_b32_e32 v1, 0, v13, vcc_lo
	v_lshrrev_b64 v[1:2], s22, v[1:2]
	s_delay_alu instid0(VALU_DEP_1) | instskip(NEXT) | instid1(VALU_DEP_1)
	v_bfe_u32 v1, v1, 0, s24
	v_and_b32_e32 v2, 7, v1
	v_lshrrev_b32_e32 v1, 3, v1
	s_delay_alu instid0(VALU_DEP_2) | instskip(NEXT) | instid1(VALU_DEP_1)
	v_mul_u32_u24_e32 v2, 0x41, v2
	v_add_lshl_u32 v2, v2, v0, 1
	s_delay_alu instid0(VALU_DEP_1)
	v_add_lshl_u32 v22, v2, v1, 1
	ds_load_u16 v23, v22
	s_waitcnt lgkmcnt(0)
	v_add_nc_u16 v1, v23, 1
	ds_store_b16 v22, v1
	s_waitcnt lgkmcnt(0)
	s_barrier
	buffer_gl0_inv
	ds_load_2addr_b64 v[5:8], v15 offset1:1
	ds_load_2addr_b64 v[1:4], v15 offset0:2 offset1:3
	s_waitcnt lgkmcnt(1)
	v_add_nc_u32_e32 v24, v6, v5
	s_delay_alu instid0(VALU_DEP_1) | instskip(SKIP_1) | instid1(VALU_DEP_1)
	v_add3_u32 v24, v24, v7, v8
	s_waitcnt lgkmcnt(0)
	v_add3_u32 v24, v24, v1, v2
	s_delay_alu instid0(VALU_DEP_1) | instskip(NEXT) | instid1(VALU_DEP_1)
	v_add3_u32 v4, v24, v3, v4
	v_mov_b32_dpp v24, v4 row_shr:1 row_mask:0xf bank_mask:0xf
	s_delay_alu instid0(VALU_DEP_1) | instskip(NEXT) | instid1(VALU_DEP_1)
	v_cndmask_b32_e64 v24, v24, 0, s4
	v_add_nc_u32_e32 v4, v24, v4
	s_delay_alu instid0(VALU_DEP_1) | instskip(NEXT) | instid1(VALU_DEP_1)
	v_mov_b32_dpp v24, v4 row_shr:2 row_mask:0xf bank_mask:0xf
	v_cndmask_b32_e64 v24, 0, v24, s5
	s_delay_alu instid0(VALU_DEP_1) | instskip(NEXT) | instid1(VALU_DEP_1)
	v_add_nc_u32_e32 v4, v4, v24
	v_mov_b32_dpp v24, v4 row_shr:4 row_mask:0xf bank_mask:0xf
	s_delay_alu instid0(VALU_DEP_1) | instskip(NEXT) | instid1(VALU_DEP_1)
	v_cndmask_b32_e64 v24, 0, v24, s6
	v_add_nc_u32_e32 v4, v4, v24
	s_delay_alu instid0(VALU_DEP_1) | instskip(NEXT) | instid1(VALU_DEP_1)
	v_mov_b32_dpp v24, v4 row_shr:8 row_mask:0xf bank_mask:0xf
	v_cndmask_b32_e64 v24, 0, v24, s7
	s_delay_alu instid0(VALU_DEP_1) | instskip(SKIP_3) | instid1(VALU_DEP_1)
	v_add_nc_u32_e32 v4, v4, v24
	ds_swizzle_b32 v24, v4 offset:swizzle(BROADCAST,32,15)
	s_waitcnt lgkmcnt(0)
	v_cndmask_b32_e64 v24, v24, 0, s8
	v_add_nc_u32_e32 v4, v4, v24
	s_and_saveexec_b32 s24, s11
	s_cbranch_execz .LBB21_14
; %bb.13:                               ;   in Loop: Header=BB21_3 Depth=1
	ds_store_b32 v17, v4 offset:2080
.LBB21_14:                              ;   in Loop: Header=BB21_3 Depth=1
	s_or_b32 exec_lo, exec_lo, s24
	s_waitcnt lgkmcnt(0)
	s_barrier
	buffer_gl0_inv
	s_and_saveexec_b32 s24, s1
	s_cbranch_execz .LBB21_16
; %bb.15:                               ;   in Loop: Header=BB21_3 Depth=1
	ds_load_b32 v24, v18 offset:2080
	s_waitcnt lgkmcnt(0)
	v_mov_b32_dpp v25, v24 row_shr:1 row_mask:0xf bank_mask:0xf
	s_delay_alu instid0(VALU_DEP_1) | instskip(NEXT) | instid1(VALU_DEP_1)
	v_cndmask_b32_e64 v25, v25, 0, s9
	v_add_nc_u32_e32 v24, v25, v24
	s_delay_alu instid0(VALU_DEP_1) | instskip(NEXT) | instid1(VALU_DEP_1)
	v_mov_b32_dpp v25, v24 row_shr:2 row_mask:0xf bank_mask:0xf
	v_cndmask_b32_e64 v25, 0, v25, s10
	s_delay_alu instid0(VALU_DEP_1)
	v_add_nc_u32_e32 v24, v24, v25
	ds_store_b32 v18, v24 offset:2080
.LBB21_16:                              ;   in Loop: Header=BB21_3 Depth=1
	s_or_b32 exec_lo, exec_lo, s24
	v_mov_b32_e32 v24, 0
	s_waitcnt lgkmcnt(0)
	s_barrier
	buffer_gl0_inv
	s_and_saveexec_b32 s24, s2
	s_cbranch_execz .LBB21_18
; %bb.17:                               ;   in Loop: Header=BB21_3 Depth=1
	ds_load_b32 v24, v17 offset:2076
.LBB21_18:                              ;   in Loop: Header=BB21_3 Depth=1
	s_or_b32 exec_lo, exec_lo, s24
	s_waitcnt lgkmcnt(0)
	v_add_nc_u32_e32 v4, v24, v4
	ds_load_b32 v25, v21 offset:2088
	s_add_i32 s22, s22, 4
	s_delay_alu instid0(SALU_CYCLE_1) | instskip(SKIP_3) | instid1(VALU_DEP_1)
	s_cmp_ge_u32 s22, s23
	ds_bpermute_b32 v4, v19, v4
	s_waitcnt lgkmcnt(0)
	v_cndmask_b32_e64 v4, v4, v24, s3
	v_lshl_add_u32 v4, v25, 16, v4
	s_delay_alu instid0(VALU_DEP_1) | instskip(NEXT) | instid1(VALU_DEP_1)
	v_add_nc_u32_e32 v5, v4, v5
	v_add_nc_u32_e32 v6, v5, v6
	s_delay_alu instid0(VALU_DEP_1) | instskip(NEXT) | instid1(VALU_DEP_1)
	v_add_nc_u32_e32 v7, v6, v7
	v_add_nc_u32_e32 v24, v7, v8
	;; [unrolled: 3-line block ×3, first 2 shown]
	s_delay_alu instid0(VALU_DEP_1)
	v_add_nc_u32_e32 v2, v1, v3
	ds_store_2addr_b64 v15, v[4:5], v[6:7] offset1:1
	ds_store_2addr_b64 v15, v[24:25], v[1:2] offset0:2 offset1:3
	s_waitcnt lgkmcnt(0)
	s_barrier
	buffer_gl0_inv
	ds_load_u16 v1, v22
	v_and_b32_e32 v2, 0xffff, v23
	s_waitcnt lgkmcnt(0)
	s_delay_alu instid0(VALU_DEP_1) | instskip(NEXT) | instid1(VALU_DEP_1)
	v_lshlrev_b32_e32 v2, 3, v2
	v_lshl_add_u32 v3, v1, 3, v2
	s_cbranch_scc0 .LBB21_2
; %bb.19:
                                        ; implicit-def: $vgpr1_vgpr2
                                        ; implicit-def: $sgpr19
.LBB21_20:
	s_mov_b32 s19, 0
	s_barrier
	buffer_gl0_inv
	ds_store_b64 v3, v[13:14]
	s_waitcnt lgkmcnt(0)
	s_barrier
.LBB21_21:
	s_and_b32 vcc_lo, exec_lo, s19
	s_cbranch_vccz .LBB21_42
; %bb.22:
	v_sub_nc_u32_e32 v1, 0, v20
	v_cmp_gt_u32_e64 s12, 0x1c7, v0
	v_cmp_gt_u32_e64 s13, 0x186, v0
	;; [unrolled: 1-line block ×7, first 2 shown]
	v_dual_mov_b32 v21, 0 :: v_dual_add_nc_u32 v20, v16, v1
	s_mov_b32 s20, -1
	s_brev_b32 s21, -2
	s_mov_b64 s[22:23], 0
	s_branch .LBB21_24
.LBB21_23:                              ;   in Loop: Header=BB21_24 Depth=1
	s_delay_alu instid0(VALU_DEP_1)
	v_lshlrev_b32_e32 v2, 3, v1
	s_barrier
	buffer_gl0_inv
	s_add_u32 s22, s22, 4
	ds_store_b64 v2, v[13:14]
	s_waitcnt lgkmcnt(0)
	s_barrier
	buffer_gl0_inv
	ds_load_b64 v[11:12], v16
	s_addc_u32 s23, s23, 0
	s_waitcnt lgkmcnt(0)
	s_barrier
	buffer_gl0_inv
	s_cbranch_execz .LBB21_41
.LBB21_24:                              ; =>This Inner Loop Header: Depth=1
	v_dual_mov_b32 v14, v12 :: v_dual_mov_b32 v13, v11
	s_and_saveexec_b32 s19, s0
	s_cbranch_execz .LBB21_33
; %bb.25:                               ;   in Loop: Header=BB21_24 Depth=1
	ds_store_b32 v20, v21
	s_and_b32 exec_lo, exec_lo, s12
	s_cbranch_execz .LBB21_33
; %bb.26:                               ;   in Loop: Header=BB21_24 Depth=1
	ds_store_b32 v20, v21 offset:260
	s_and_b32 exec_lo, exec_lo, s13
	s_cbranch_execz .LBB21_33
; %bb.27:                               ;   in Loop: Header=BB21_24 Depth=1
	ds_store_b32 v20, v21 offset:520
	;; [unrolled: 4-line block ×7, first 2 shown]
.LBB21_33:                              ;   in Loop: Header=BB21_24 Depth=1
	s_or_b32 exec_lo, exec_lo, s19
	s_delay_alu instid0(VALU_DEP_1) | instskip(SKIP_2) | instid1(VALU_DEP_1)
	v_cmp_ne_u64_e32 vcc_lo, s[20:21], v[13:14]
	v_cndmask_b32_e32 v2, 0x80000000, v14, vcc_lo
	v_cndmask_b32_e32 v1, 0, v13, vcc_lo
	v_lshrrev_b64 v[1:2], s22, v[1:2]
	s_delay_alu instid0(VALU_DEP_1) | instskip(SKIP_1) | instid1(VALU_DEP_2)
	v_and_b32_e32 v2, 7, v1
	v_lshrrev_b32_e32 v1, 2, v1
	v_mad_u32_u24 v2, 0x41, v2, v0
	s_delay_alu instid0(VALU_DEP_2) | instskip(NEXT) | instid1(VALU_DEP_1)
	v_and_b32_e32 v1, 2, v1
	v_lshl_or_b32 v11, v2, 2, v1
	ds_load_u16 v12, v11
	s_waitcnt lgkmcnt(0)
	v_add_nc_u16 v1, v12, 1
	ds_store_b16 v11, v1
	s_waitcnt lgkmcnt(0)
	s_barrier
	buffer_gl0_inv
	ds_load_2addr_b64 v[5:8], v15 offset1:1
	ds_load_2addr_b64 v[1:4], v15 offset0:2 offset1:3
	s_waitcnt lgkmcnt(1)
	v_add_nc_u32_e32 v22, v6, v5
	s_delay_alu instid0(VALU_DEP_1) | instskip(SKIP_1) | instid1(VALU_DEP_1)
	v_add3_u32 v22, v22, v7, v8
	s_waitcnt lgkmcnt(0)
	v_add3_u32 v22, v22, v1, v2
	s_delay_alu instid0(VALU_DEP_1) | instskip(NEXT) | instid1(VALU_DEP_1)
	v_add3_u32 v4, v22, v3, v4
	v_mov_b32_dpp v22, v4 row_shr:1 row_mask:0xf bank_mask:0xf
	s_delay_alu instid0(VALU_DEP_1) | instskip(NEXT) | instid1(VALU_DEP_1)
	v_cndmask_b32_e64 v22, v22, 0, s4
	v_add_nc_u32_e32 v4, v22, v4
	s_delay_alu instid0(VALU_DEP_1) | instskip(NEXT) | instid1(VALU_DEP_1)
	v_mov_b32_dpp v22, v4 row_shr:2 row_mask:0xf bank_mask:0xf
	v_cndmask_b32_e64 v22, 0, v22, s5
	s_delay_alu instid0(VALU_DEP_1) | instskip(NEXT) | instid1(VALU_DEP_1)
	v_add_nc_u32_e32 v4, v4, v22
	v_mov_b32_dpp v22, v4 row_shr:4 row_mask:0xf bank_mask:0xf
	s_delay_alu instid0(VALU_DEP_1) | instskip(NEXT) | instid1(VALU_DEP_1)
	v_cndmask_b32_e64 v22, 0, v22, s6
	v_add_nc_u32_e32 v4, v4, v22
	s_delay_alu instid0(VALU_DEP_1) | instskip(NEXT) | instid1(VALU_DEP_1)
	v_mov_b32_dpp v22, v4 row_shr:8 row_mask:0xf bank_mask:0xf
	v_cndmask_b32_e64 v22, 0, v22, s7
	s_delay_alu instid0(VALU_DEP_1) | instskip(SKIP_3) | instid1(VALU_DEP_1)
	v_add_nc_u32_e32 v4, v4, v22
	ds_swizzle_b32 v22, v4 offset:swizzle(BROADCAST,32,15)
	s_waitcnt lgkmcnt(0)
	v_cndmask_b32_e64 v22, v22, 0, s8
	v_add_nc_u32_e32 v4, v4, v22
	s_and_saveexec_b32 s19, s11
	s_cbranch_execz .LBB21_35
; %bb.34:                               ;   in Loop: Header=BB21_24 Depth=1
	ds_store_b32 v17, v4 offset:2080
.LBB21_35:                              ;   in Loop: Header=BB21_24 Depth=1
	s_or_b32 exec_lo, exec_lo, s19
	s_waitcnt lgkmcnt(0)
	s_barrier
	buffer_gl0_inv
	s_and_saveexec_b32 s19, s1
	s_cbranch_execz .LBB21_37
; %bb.36:                               ;   in Loop: Header=BB21_24 Depth=1
	ds_load_b32 v22, v18 offset:2080
	s_waitcnt lgkmcnt(0)
	v_mov_b32_dpp v23, v22 row_shr:1 row_mask:0xf bank_mask:0xf
	s_delay_alu instid0(VALU_DEP_1) | instskip(NEXT) | instid1(VALU_DEP_1)
	v_cndmask_b32_e64 v23, v23, 0, s9
	v_add_nc_u32_e32 v22, v23, v22
	s_delay_alu instid0(VALU_DEP_1) | instskip(NEXT) | instid1(VALU_DEP_1)
	v_mov_b32_dpp v23, v22 row_shr:2 row_mask:0xf bank_mask:0xf
	v_cndmask_b32_e64 v23, 0, v23, s10
	s_delay_alu instid0(VALU_DEP_1)
	v_add_nc_u32_e32 v22, v22, v23
	ds_store_b32 v18, v22 offset:2080
.LBB21_37:                              ;   in Loop: Header=BB21_24 Depth=1
	s_or_b32 exec_lo, exec_lo, s19
	v_mov_b32_e32 v22, 0
	s_waitcnt lgkmcnt(0)
	s_barrier
	buffer_gl0_inv
	s_and_saveexec_b32 s19, s2
	s_cbranch_execz .LBB21_39
; %bb.38:                               ;   in Loop: Header=BB21_24 Depth=1
	ds_load_b32 v22, v17 offset:2076
.LBB21_39:                              ;   in Loop: Header=BB21_24 Depth=1
	s_or_b32 exec_lo, exec_lo, s19
	s_waitcnt lgkmcnt(0)
	v_add_nc_u32_e32 v4, v22, v4
	ds_load_b32 v23, v21 offset:2088
	s_cmp_gt_u32 s22, 59
	ds_bpermute_b32 v4, v19, v4
	s_waitcnt lgkmcnt(0)
	v_cndmask_b32_e64 v4, v4, v22, s3
	s_delay_alu instid0(VALU_DEP_1) | instskip(NEXT) | instid1(VALU_DEP_1)
	v_lshl_add_u32 v4, v23, 16, v4
	v_add_nc_u32_e32 v5, v4, v5
	s_delay_alu instid0(VALU_DEP_1) | instskip(NEXT) | instid1(VALU_DEP_1)
	v_add_nc_u32_e32 v6, v5, v6
	v_add_nc_u32_e32 v7, v6, v7
	s_delay_alu instid0(VALU_DEP_1) | instskip(NEXT) | instid1(VALU_DEP_1)
	v_add_nc_u32_e32 v22, v7, v8
	;; [unrolled: 3-line block ×3, first 2 shown]
	v_add_nc_u32_e32 v2, v1, v3
	ds_store_2addr_b64 v15, v[4:5], v[6:7] offset1:1
	ds_store_2addr_b64 v15, v[22:23], v[1:2] offset0:2 offset1:3
	s_waitcnt lgkmcnt(0)
	s_barrier
	buffer_gl0_inv
	ds_load_u16 v1, v11
	v_and_b32_e32 v2, 0xffff, v12
	s_waitcnt lgkmcnt(0)
	s_delay_alu instid0(VALU_DEP_1)
	v_add_nc_u32_e32 v1, v1, v2
	s_cbranch_scc0 .LBB21_23
; %bb.40:
                                        ; implicit-def: $vgpr11_vgpr12
                                        ; implicit-def: $sgpr22_sgpr23
.LBB21_41:
	s_delay_alu instid0(VALU_DEP_1)
	v_lshlrev_b32_e32 v0, 3, v1
	s_barrier
	buffer_gl0_inv
	ds_store_b64 v0, v[13:14]
	s_waitcnt lgkmcnt(0)
	s_barrier
.LBB21_42:
	buffer_gl0_inv
	ds_load_b64 v[0:1], v16
	s_waitcnt lgkmcnt(0)
	v_cmp_lt_i64_e32 vcc_lo, -1, v[0:1]
	v_ashrrev_i32_e32 v2, 31, v1
	s_delay_alu instid0(VALU_DEP_1) | instskip(SKIP_1) | instid1(VALU_DEP_2)
	v_not_b32_e32 v2, v2
	v_cndmask_b32_e64 v3, 0x80000000, -1, vcc_lo
	v_xor_b32_e32 v0, v2, v0
	s_delay_alu instid0(VALU_DEP_2)
	v_xor_b32_e32 v1, v3, v1
	global_store_b64 v[9:10], v[0:1], off
	s_nop 0
	s_sendmsg sendmsg(MSG_DEALLOC_VGPRS)
	s_endpgm
	.section	.rodata,"a",@progbits
	.p2align	6, 0x0
	.amdhsa_kernel _Z15sort_key_kernelILj65ELj1ELb0ELb0EdEvPT3_jj
		.amdhsa_group_segment_fixed_size 2096
		.amdhsa_private_segment_fixed_size 0
		.amdhsa_kernarg_size 16
		.amdhsa_user_sgpr_count 15
		.amdhsa_user_sgpr_dispatch_ptr 0
		.amdhsa_user_sgpr_queue_ptr 0
		.amdhsa_user_sgpr_kernarg_segment_ptr 1
		.amdhsa_user_sgpr_dispatch_id 0
		.amdhsa_user_sgpr_private_segment_size 0
		.amdhsa_wavefront_size32 1
		.amdhsa_uses_dynamic_stack 0
		.amdhsa_enable_private_segment 0
		.amdhsa_system_sgpr_workgroup_id_x 1
		.amdhsa_system_sgpr_workgroup_id_y 0
		.amdhsa_system_sgpr_workgroup_id_z 0
		.amdhsa_system_sgpr_workgroup_info 0
		.amdhsa_system_vgpr_workitem_id 0
		.amdhsa_next_free_vgpr 26
		.amdhsa_next_free_sgpr 25
		.amdhsa_reserve_vcc 1
		.amdhsa_float_round_mode_32 0
		.amdhsa_float_round_mode_16_64 0
		.amdhsa_float_denorm_mode_32 3
		.amdhsa_float_denorm_mode_16_64 3
		.amdhsa_dx10_clamp 1
		.amdhsa_ieee_mode 1
		.amdhsa_fp16_overflow 0
		.amdhsa_workgroup_processor_mode 1
		.amdhsa_memory_ordered 1
		.amdhsa_forward_progress 0
		.amdhsa_shared_vgpr_count 0
		.amdhsa_exception_fp_ieee_invalid_op 0
		.amdhsa_exception_fp_denorm_src 0
		.amdhsa_exception_fp_ieee_div_zero 0
		.amdhsa_exception_fp_ieee_overflow 0
		.amdhsa_exception_fp_ieee_underflow 0
		.amdhsa_exception_fp_ieee_inexact 0
		.amdhsa_exception_int_div_zero 0
	.end_amdhsa_kernel
	.section	.text._Z15sort_key_kernelILj65ELj1ELb0ELb0EdEvPT3_jj,"axG",@progbits,_Z15sort_key_kernelILj65ELj1ELb0ELb0EdEvPT3_jj,comdat
.Lfunc_end21:
	.size	_Z15sort_key_kernelILj65ELj1ELb0ELb0EdEvPT3_jj, .Lfunc_end21-_Z15sort_key_kernelILj65ELj1ELb0ELb0EdEvPT3_jj
                                        ; -- End function
	.section	.AMDGPU.csdata,"",@progbits
; Kernel info:
; codeLenInByte = 2396
; NumSgprs: 27
; NumVgprs: 26
; ScratchSize: 0
; MemoryBound: 0
; FloatMode: 240
; IeeeMode: 1
; LDSByteSize: 2096 bytes/workgroup (compile time only)
; SGPRBlocks: 3
; VGPRBlocks: 3
; NumSGPRsForWavesPerEU: 27
; NumVGPRsForWavesPerEU: 26
; Occupancy: 16
; WaveLimiterHint : 0
; COMPUTE_PGM_RSRC2:SCRATCH_EN: 0
; COMPUTE_PGM_RSRC2:USER_SGPR: 15
; COMPUTE_PGM_RSRC2:TRAP_HANDLER: 0
; COMPUTE_PGM_RSRC2:TGID_X_EN: 1
; COMPUTE_PGM_RSRC2:TGID_Y_EN: 0
; COMPUTE_PGM_RSRC2:TGID_Z_EN: 0
; COMPUTE_PGM_RSRC2:TIDIG_COMP_CNT: 0
	.section	.text._Z15sort_key_kernelILj1024ELj1ELb0ELb1EtEvPT3_jj,"axG",@progbits,_Z15sort_key_kernelILj1024ELj1ELb0ELb1EtEvPT3_jj,comdat
	.protected	_Z15sort_key_kernelILj1024ELj1ELb0ELb1EtEvPT3_jj ; -- Begin function _Z15sort_key_kernelILj1024ELj1ELb0ELb1EtEvPT3_jj
	.globl	_Z15sort_key_kernelILj1024ELj1ELb0ELb1EtEvPT3_jj
	.p2align	8
	.type	_Z15sort_key_kernelILj1024ELj1ELb0ELb1EtEvPT3_jj,@function
_Z15sort_key_kernelILj1024ELj1ELb0ELb1EtEvPT3_jj: ; @_Z15sort_key_kernelILj1024ELj1ELb0ELb1EtEvPT3_jj
; %bb.0:
	s_load_b128 s[16:19], s[0:1], 0x0
	v_mbcnt_lo_u32_b32 v2, -1, 0
	s_mov_b32 s11, 0
	s_lshl_b32 s10, s15, 10
	v_bfe_u32 v3, v0, 10, 10
	s_lshl_b64 s[2:3], s[10:11], 1
	s_load_b32 s10, s[0:1], 0x1c
	v_add_nc_u32_e32 v7, -1, v2
	v_and_b32_e32 v6, 16, v2
	v_and_b32_e32 v5, 15, v2
	v_cmp_eq_u32_e64 s0, 0, v2
	s_delay_alu instid0(VALU_DEP_4)
	v_cmp_gt_i32_e32 vcc_lo, 0, v7
	v_and_b32_e32 v1, 0x3ff, v0
	v_bfe_u32 v0, v0, 20, 10
	v_cmp_eq_u32_e64 s7, 0, v5
	v_cmp_lt_u32_e64 s6, 1, v5
	v_cmp_lt_u32_e64 s5, 3, v5
	;; [unrolled: 1-line block ×3, first 2 shown]
	s_waitcnt lgkmcnt(0)
	s_add_u32 s12, s16, s2
	s_addc_u32 s13, s17, s3
	v_cmp_eq_u32_e64 s3, 0, v6
	v_cndmask_b32_e32 v6, v7, v2, vcc_lo
	v_lshlrev_b32_e32 v14, 1, v1
	s_cmp_eq_u32 s18, 0
	v_and_or_b32 v2, 0x3e0, v1, v2
	s_cselect_b32 s14, -1, 0
	s_cmp_eq_u32 s19, 16
	global_load_u16 v4, v14, s[12:13]
	s_cselect_b32 s15, -1, 0
	s_lshr_b32 s16, s10, 16
	v_lshrrev_b32_e32 v7, 3, v1
	v_mad_u32_u24 v0, v0, s16, v3
	s_and_b32 s10, s10, 0xffff
	v_lshlrev_b32_e32 v22, 1, v2
	v_lshlrev_b32_e32 v15, 5, v1
	v_and_b32_e32 v5, 31, v1
	v_mad_u64_u32 v[2:3], null, v0, s10, v[1:2]
	v_mul_i32_i24_e32 v10, 0xffffffe4, v1
	v_and_b32_e32 v20, 0x7c, v7
	v_add_co_u32 v8, s12, s12, v14
	v_cmp_gt_u32_e64 s8, 32, v1
	v_cmp_lt_u32_e64 s2, 31, v1
	v_cmp_eq_u32_e64 s1, 0, v1
	v_add_nc_u32_e32 v16, 0x80, v15
	v_cmp_eq_u32_e64 s9, 31, v5
	v_lshlrev_b32_e32 v17, 2, v6
	v_add_nc_u32_e32 v18, -4, v20
	v_add_co_ci_u32_e64 v9, null, s13, 0, s12
	v_lshrrev_b32_e32 v21, 5, v2
	v_add_nc_u32_e32 v19, v15, v10
	s_and_b32 s10, s14, s15
	s_delay_alu instid0(SALU_CYCLE_1)
	s_and_b32 vcc_lo, exec_lo, s10
	s_mov_b32 s10, -1
	s_waitcnt vmcnt(0)
	v_xor_b32_e32 v23, -1, v4
	s_cbranch_vccnz .LBB22_14
; %bb.1:
	s_mov_b32 s10, s11
	s_mov_b32 s12, s11
	;; [unrolled: 1-line block ×3, first 2 shown]
	v_dual_mov_b32 v10, s10 :: v_dual_mov_b32 v11, s11
	v_dual_mov_b32 v12, s12 :: v_dual_mov_b32 v13, s13
	v_mov_b32_e32 v1, v23
	s_sub_i32 s11, s19, s18
	s_branch .LBB22_3
.LBB22_2:                               ;   in Loop: Header=BB22_3 Depth=1
	s_barrier
	buffer_gl0_inv
	ds_store_b16 v0, v24
	s_waitcnt lgkmcnt(0)
	s_barrier
	buffer_gl0_inv
	ds_load_u16 v1, v22
	s_add_i32 s11, s11, -8
	s_waitcnt lgkmcnt(0)
	s_barrier
	buffer_gl0_inv
	s_cbranch_execz .LBB22_13
.LBB22_3:                               ; =>This Inner Loop Header: Depth=1
	s_delay_alu instid0(VALU_DEP_1)
	v_mov_b32_e32 v24, v1
	s_min_u32 s10, s11, 8
	ds_store_2addr_b64 v15, v[10:11], v[12:13] offset0:16 offset1:17
	ds_store_2addr_b64 v16, v[10:11], v[12:13] offset0:2 offset1:3
	s_waitcnt lgkmcnt(0)
	s_barrier
	v_and_b32_e32 v0, 0xffff, v24
	buffer_gl0_inv
	; wave barrier
	v_lshrrev_b32_e32 v0, s18, v0
	s_delay_alu instid0(VALU_DEP_1) | instskip(NEXT) | instid1(VALU_DEP_1)
	v_bfe_u32 v1, v0, 0, s10
	v_lshlrev_b32_e32 v3, 29, v1
	v_and_b32_e32 v0, 1, v1
	v_lshlrev_b32_e32 v2, 30, v1
	v_lshlrev_b32_e32 v4, 28, v1
	;; [unrolled: 1-line block ×4, first 2 shown]
	v_add_co_u32 v0, s10, v0, -1
	s_delay_alu instid0(VALU_DEP_1)
	v_cndmask_b32_e64 v5, 0, 1, s10
	v_not_b32_e32 v26, v2
	v_cmp_gt_i32_e64 s10, 0, v2
	v_not_b32_e32 v2, v3
	v_lshlrev_b32_e32 v25, 25, v1
	v_cmp_ne_u32_e32 vcc_lo, 0, v5
	v_ashrrev_i32_e32 v26, 31, v26
	v_lshlrev_b32_e32 v5, 24, v1
	v_ashrrev_i32_e32 v2, 31, v2
	v_lshl_add_u32 v1, v1, 5, v21
	v_xor_b32_e32 v0, vcc_lo, v0
	v_cmp_gt_i32_e32 vcc_lo, 0, v3
	v_not_b32_e32 v3, v4
	v_xor_b32_e32 v26, s10, v26
	v_cmp_gt_i32_e64 s10, 0, v4
	v_and_b32_e32 v0, exec_lo, v0
	v_not_b32_e32 v4, v6
	v_ashrrev_i32_e32 v3, 31, v3
	v_xor_b32_e32 v2, vcc_lo, v2
	v_cmp_gt_i32_e32 vcc_lo, 0, v6
	v_and_b32_e32 v0, v0, v26
	v_not_b32_e32 v6, v7
	v_ashrrev_i32_e32 v4, 31, v4
	v_xor_b32_e32 v3, s10, v3
	v_cmp_gt_i32_e64 s10, 0, v7
	v_and_b32_e32 v0, v0, v2
	v_not_b32_e32 v2, v25
	v_ashrrev_i32_e32 v6, 31, v6
	v_xor_b32_e32 v4, vcc_lo, v4
	v_cmp_gt_i32_e32 vcc_lo, 0, v25
	v_and_b32_e32 v0, v0, v3
	v_not_b32_e32 v3, v5
	v_ashrrev_i32_e32 v2, 31, v2
	v_xor_b32_e32 v6, s10, v6
	v_cmp_gt_i32_e64 s10, 0, v5
	v_and_b32_e32 v0, v0, v4
	v_ashrrev_i32_e32 v3, 31, v3
	v_xor_b32_e32 v2, vcc_lo, v2
	v_lshl_add_u32 v26, v1, 2, 0x80
	s_delay_alu instid0(VALU_DEP_4) | instskip(NEXT) | instid1(VALU_DEP_4)
	v_and_b32_e32 v0, v0, v6
	v_xor_b32_e32 v3, s10, v3
	s_delay_alu instid0(VALU_DEP_2) | instskip(NEXT) | instid1(VALU_DEP_1)
	v_and_b32_e32 v0, v0, v2
	v_and_b32_e32 v0, v0, v3
	s_delay_alu instid0(VALU_DEP_1) | instskip(SKIP_1) | instid1(VALU_DEP_2)
	v_mbcnt_lo_u32_b32 v25, v0, 0
	v_cmp_ne_u32_e64 s10, 0, v0
	v_cmp_eq_u32_e32 vcc_lo, 0, v25
	s_delay_alu instid0(VALU_DEP_2) | instskip(NEXT) | instid1(SALU_CYCLE_1)
	s_and_b32 s12, s10, vcc_lo
	s_and_saveexec_b32 s10, s12
	s_cbranch_execz .LBB22_5
; %bb.4:                                ;   in Loop: Header=BB22_3 Depth=1
	v_bcnt_u32_b32 v0, v0, 0
	ds_store_b32 v26, v0
.LBB22_5:                               ;   in Loop: Header=BB22_3 Depth=1
	s_or_b32 exec_lo, exec_lo, s10
	; wave barrier
	s_waitcnt lgkmcnt(0)
	s_barrier
	buffer_gl0_inv
	ds_load_2addr_b64 v[4:7], v15 offset0:16 offset1:17
	ds_load_2addr_b64 v[0:3], v16 offset0:2 offset1:3
	s_waitcnt lgkmcnt(1)
	v_add_nc_u32_e32 v27, v5, v4
	s_delay_alu instid0(VALU_DEP_1) | instskip(SKIP_1) | instid1(VALU_DEP_1)
	v_add3_u32 v27, v27, v6, v7
	s_waitcnt lgkmcnt(0)
	v_add3_u32 v27, v27, v0, v1
	s_delay_alu instid0(VALU_DEP_1) | instskip(NEXT) | instid1(VALU_DEP_1)
	v_add3_u32 v3, v27, v2, v3
	v_mov_b32_dpp v27, v3 row_shr:1 row_mask:0xf bank_mask:0xf
	s_delay_alu instid0(VALU_DEP_1) | instskip(NEXT) | instid1(VALU_DEP_1)
	v_cndmask_b32_e64 v27, v27, 0, s7
	v_add_nc_u32_e32 v3, v27, v3
	s_delay_alu instid0(VALU_DEP_1) | instskip(NEXT) | instid1(VALU_DEP_1)
	v_mov_b32_dpp v27, v3 row_shr:2 row_mask:0xf bank_mask:0xf
	v_cndmask_b32_e64 v27, 0, v27, s6
	s_delay_alu instid0(VALU_DEP_1) | instskip(NEXT) | instid1(VALU_DEP_1)
	v_add_nc_u32_e32 v3, v3, v27
	v_mov_b32_dpp v27, v3 row_shr:4 row_mask:0xf bank_mask:0xf
	s_delay_alu instid0(VALU_DEP_1) | instskip(NEXT) | instid1(VALU_DEP_1)
	v_cndmask_b32_e64 v27, 0, v27, s5
	v_add_nc_u32_e32 v3, v3, v27
	s_delay_alu instid0(VALU_DEP_1) | instskip(NEXT) | instid1(VALU_DEP_1)
	v_mov_b32_dpp v27, v3 row_shr:8 row_mask:0xf bank_mask:0xf
	v_cndmask_b32_e64 v27, 0, v27, s4
	s_delay_alu instid0(VALU_DEP_1) | instskip(SKIP_3) | instid1(VALU_DEP_1)
	v_add_nc_u32_e32 v3, v3, v27
	ds_swizzle_b32 v27, v3 offset:swizzle(BROADCAST,32,15)
	s_waitcnt lgkmcnt(0)
	v_cndmask_b32_e64 v27, v27, 0, s3
	v_add_nc_u32_e32 v3, v3, v27
	s_and_saveexec_b32 s10, s9
	s_cbranch_execz .LBB22_7
; %bb.6:                                ;   in Loop: Header=BB22_3 Depth=1
	ds_store_b32 v20, v3
.LBB22_7:                               ;   in Loop: Header=BB22_3 Depth=1
	s_or_b32 exec_lo, exec_lo, s10
	s_waitcnt lgkmcnt(0)
	s_barrier
	buffer_gl0_inv
	s_and_saveexec_b32 s10, s8
	s_cbranch_execz .LBB22_9
; %bb.8:                                ;   in Loop: Header=BB22_3 Depth=1
	ds_load_b32 v27, v19
	s_waitcnt lgkmcnt(0)
	v_mov_b32_dpp v28, v27 row_shr:1 row_mask:0xf bank_mask:0xf
	s_delay_alu instid0(VALU_DEP_1) | instskip(NEXT) | instid1(VALU_DEP_1)
	v_cndmask_b32_e64 v28, v28, 0, s7
	v_add_nc_u32_e32 v27, v28, v27
	s_delay_alu instid0(VALU_DEP_1) | instskip(NEXT) | instid1(VALU_DEP_1)
	v_mov_b32_dpp v28, v27 row_shr:2 row_mask:0xf bank_mask:0xf
	v_cndmask_b32_e64 v28, 0, v28, s6
	s_delay_alu instid0(VALU_DEP_1) | instskip(NEXT) | instid1(VALU_DEP_1)
	v_add_nc_u32_e32 v27, v27, v28
	v_mov_b32_dpp v28, v27 row_shr:4 row_mask:0xf bank_mask:0xf
	s_delay_alu instid0(VALU_DEP_1) | instskip(NEXT) | instid1(VALU_DEP_1)
	v_cndmask_b32_e64 v28, 0, v28, s5
	v_add_nc_u32_e32 v27, v27, v28
	s_delay_alu instid0(VALU_DEP_1) | instskip(NEXT) | instid1(VALU_DEP_1)
	v_mov_b32_dpp v28, v27 row_shr:8 row_mask:0xf bank_mask:0xf
	v_cndmask_b32_e64 v28, 0, v28, s4
	s_delay_alu instid0(VALU_DEP_1) | instskip(SKIP_3) | instid1(VALU_DEP_1)
	v_add_nc_u32_e32 v27, v27, v28
	ds_swizzle_b32 v28, v27 offset:swizzle(BROADCAST,32,15)
	s_waitcnt lgkmcnt(0)
	v_cndmask_b32_e64 v28, v28, 0, s3
	v_add_nc_u32_e32 v27, v27, v28
	ds_store_b32 v19, v27
.LBB22_9:                               ;   in Loop: Header=BB22_3 Depth=1
	s_or_b32 exec_lo, exec_lo, s10
	v_mov_b32_e32 v27, 0
	s_waitcnt lgkmcnt(0)
	s_barrier
	buffer_gl0_inv
	s_and_saveexec_b32 s10, s2
	s_cbranch_execz .LBB22_11
; %bb.10:                               ;   in Loop: Header=BB22_3 Depth=1
	ds_load_b32 v27, v18
.LBB22_11:                              ;   in Loop: Header=BB22_3 Depth=1
	s_or_b32 exec_lo, exec_lo, s10
	s_waitcnt lgkmcnt(0)
	v_add_nc_u32_e32 v3, v27, v3
	s_add_i32 s18, s18, 8
	s_delay_alu instid0(SALU_CYCLE_1) | instskip(SKIP_3) | instid1(VALU_DEP_1)
	s_cmp_ge_u32 s18, s19
	ds_bpermute_b32 v3, v17, v3
	s_waitcnt lgkmcnt(0)
	v_cndmask_b32_e64 v3, v3, v27, s0
	v_cndmask_b32_e64 v3, v3, 0, s1
	s_delay_alu instid0(VALU_DEP_1) | instskip(NEXT) | instid1(VALU_DEP_1)
	v_add_nc_u32_e32 v4, v3, v4
	v_add_nc_u32_e32 v5, v4, v5
	s_delay_alu instid0(VALU_DEP_1) | instskip(NEXT) | instid1(VALU_DEP_1)
	v_add_nc_u32_e32 v6, v5, v6
	v_add_nc_u32_e32 v27, v6, v7
	;; [unrolled: 3-line block ×3, first 2 shown]
	s_delay_alu instid0(VALU_DEP_1)
	v_add_nc_u32_e32 v1, v0, v2
	ds_store_2addr_b64 v15, v[3:4], v[5:6] offset0:16 offset1:17
	ds_store_2addr_b64 v16, v[27:28], v[0:1] offset0:2 offset1:3
	s_waitcnt lgkmcnt(0)
	s_barrier
	buffer_gl0_inv
	ds_load_b32 v0, v26
	v_lshlrev_b32_e32 v1, 1, v25
	s_waitcnt lgkmcnt(0)
	s_delay_alu instid0(VALU_DEP_1)
	v_lshl_add_u32 v0, v0, 1, v1
	s_cbranch_scc0 .LBB22_2
; %bb.12:
                                        ; implicit-def: $vgpr1
                                        ; implicit-def: $sgpr11
.LBB22_13:
	s_mov_b32 s10, 0
	s_barrier
	buffer_gl0_inv
	ds_store_b16 v0, v24
	s_waitcnt lgkmcnt(0)
	s_barrier
.LBB22_14:
	s_and_b32 vcc_lo, exec_lo, s10
	s_cbranch_vccz .LBB22_32
; %bb.15:
	s_mov_b32 s12, 0
	s_delay_alu instid0(SALU_CYCLE_1) | instskip(SKIP_2) | instid1(VALU_DEP_1)
	s_mov_b32 s13, s12
	v_and_b32_e32 v0, 0xff, v23
	s_mov_b32 s11, s12
	v_and_b32_e32 v5, 0xffff, v0
	s_delay_alu instid0(VALU_DEP_1)
	v_and_b32_e32 v0, 1, v5
	v_lshlrev_b32_e32 v1, 30, v5
	v_lshlrev_b32_e32 v2, 29, v5
	;; [unrolled: 1-line block ×4, first 2 shown]
	v_add_co_u32 v0, s10, v0, -1
	s_delay_alu instid0(VALU_DEP_1)
	v_cndmask_b32_e64 v4, 0, 1, s10
	v_not_b32_e32 v11, v1
	v_cmp_gt_i32_e64 s10, 0, v1
	v_not_b32_e32 v1, v2
	v_lshlrev_b32_e32 v7, 26, v5
	v_cmp_ne_u32_e32 vcc_lo, 0, v4
	v_ashrrev_i32_e32 v11, 31, v11
	v_lshlrev_b32_e32 v10, 25, v5
	v_ashrrev_i32_e32 v1, 31, v1
	v_lshlrev_b32_e32 v4, 24, v5
	v_xor_b32_e32 v0, vcc_lo, v0
	v_cmp_gt_i32_e32 vcc_lo, 0, v2
	v_not_b32_e32 v2, v3
	v_xor_b32_e32 v11, s10, v11
	v_cmp_gt_i32_e64 s10, 0, v3
	v_and_b32_e32 v0, exec_lo, v0
	v_not_b32_e32 v3, v6
	v_ashrrev_i32_e32 v2, 31, v2
	v_xor_b32_e32 v1, vcc_lo, v1
	v_cmp_gt_i32_e32 vcc_lo, 0, v6
	v_and_b32_e32 v0, v0, v11
	v_not_b32_e32 v6, v7
	v_ashrrev_i32_e32 v3, 31, v3
	v_xor_b32_e32 v2, s10, v2
	v_cmp_gt_i32_e64 s10, 0, v7
	v_and_b32_e32 v0, v0, v1
	v_not_b32_e32 v1, v10
	v_ashrrev_i32_e32 v6, 31, v6
	v_xor_b32_e32 v3, vcc_lo, v3
	v_cmp_gt_i32_e32 vcc_lo, 0, v10
	v_and_b32_e32 v0, v0, v2
	v_not_b32_e32 v2, v4
	v_ashrrev_i32_e32 v1, 31, v1
	v_xor_b32_e32 v6, s10, v6
	v_cmp_gt_i32_e64 s10, 0, v4
	v_and_b32_e32 v0, v0, v3
	v_ashrrev_i32_e32 v2, 31, v2
	v_xor_b32_e32 v1, vcc_lo, v1
	s_delay_alu instid0(VALU_DEP_3) | instskip(NEXT) | instid1(VALU_DEP_3)
	v_and_b32_e32 v0, v0, v6
	v_xor_b32_e32 v3, s10, v2
	s_mov_b32 s10, s12
	s_delay_alu instid0(VALU_DEP_2) | instskip(SKIP_1) | instid1(VALU_DEP_2)
	v_dual_mov_b32 v1, s12 :: v_dual_and_b32 v0, v0, v1
	v_mov_b32_e32 v2, s13
	v_dual_mov_b32 v3, s10 :: v_dual_and_b32 v0, v0, v3
	v_mov_b32_e32 v4, s11
	ds_store_2addr_b64 v15, v[1:2], v[3:4] offset0:16 offset1:17
	ds_store_2addr_b64 v16, v[1:2], v[3:4] offset0:2 offset1:3
	v_mbcnt_lo_u32_b32 v10, v0, 0
	v_lshlrev_b32_e32 v1, 5, v5
	v_cmp_ne_u32_e64 s10, 0, v0
	s_waitcnt lgkmcnt(0)
	s_barrier
	v_cmp_eq_u32_e32 vcc_lo, 0, v10
	v_add_lshl_u32 v11, v21, v1, 2
	buffer_gl0_inv
	; wave barrier
	s_and_b32 s11, s10, vcc_lo
	s_delay_alu instid0(SALU_CYCLE_1)
	s_and_saveexec_b32 s10, s11
	s_cbranch_execz .LBB22_17
; %bb.16:
	v_bcnt_u32_b32 v0, v0, 0
	ds_store_b32 v11, v0 offset:128
.LBB22_17:
	s_or_b32 exec_lo, exec_lo, s10
	; wave barrier
	s_waitcnt lgkmcnt(0)
	s_barrier
	buffer_gl0_inv
	ds_load_2addr_b64 v[4:7], v15 offset0:16 offset1:17
	ds_load_2addr_b64 v[0:3], v16 offset0:2 offset1:3
	s_waitcnt lgkmcnt(1)
	v_add_nc_u32_e32 v12, v5, v4
	s_delay_alu instid0(VALU_DEP_1) | instskip(SKIP_1) | instid1(VALU_DEP_1)
	v_add3_u32 v12, v12, v6, v7
	s_waitcnt lgkmcnt(0)
	v_add3_u32 v12, v12, v0, v1
	s_delay_alu instid0(VALU_DEP_1) | instskip(NEXT) | instid1(VALU_DEP_1)
	v_add3_u32 v3, v12, v2, v3
	v_mov_b32_dpp v12, v3 row_shr:1 row_mask:0xf bank_mask:0xf
	s_delay_alu instid0(VALU_DEP_1) | instskip(NEXT) | instid1(VALU_DEP_1)
	v_cndmask_b32_e64 v12, v12, 0, s7
	v_add_nc_u32_e32 v3, v12, v3
	s_delay_alu instid0(VALU_DEP_1) | instskip(NEXT) | instid1(VALU_DEP_1)
	v_mov_b32_dpp v12, v3 row_shr:2 row_mask:0xf bank_mask:0xf
	v_cndmask_b32_e64 v12, 0, v12, s6
	s_delay_alu instid0(VALU_DEP_1) | instskip(NEXT) | instid1(VALU_DEP_1)
	v_add_nc_u32_e32 v3, v3, v12
	v_mov_b32_dpp v12, v3 row_shr:4 row_mask:0xf bank_mask:0xf
	s_delay_alu instid0(VALU_DEP_1) | instskip(NEXT) | instid1(VALU_DEP_1)
	v_cndmask_b32_e64 v12, 0, v12, s5
	v_add_nc_u32_e32 v3, v3, v12
	s_delay_alu instid0(VALU_DEP_1) | instskip(NEXT) | instid1(VALU_DEP_1)
	v_mov_b32_dpp v12, v3 row_shr:8 row_mask:0xf bank_mask:0xf
	v_cndmask_b32_e64 v12, 0, v12, s4
	s_delay_alu instid0(VALU_DEP_1) | instskip(SKIP_3) | instid1(VALU_DEP_1)
	v_add_nc_u32_e32 v3, v3, v12
	ds_swizzle_b32 v12, v3 offset:swizzle(BROADCAST,32,15)
	s_waitcnt lgkmcnt(0)
	v_cndmask_b32_e64 v12, v12, 0, s3
	v_add_nc_u32_e32 v3, v3, v12
	s_and_saveexec_b32 s10, s9
	s_cbranch_execz .LBB22_19
; %bb.18:
	ds_store_b32 v20, v3
.LBB22_19:
	s_or_b32 exec_lo, exec_lo, s10
	s_waitcnt lgkmcnt(0)
	s_barrier
	buffer_gl0_inv
	s_and_saveexec_b32 s10, s8
	s_cbranch_execz .LBB22_21
; %bb.20:
	ds_load_b32 v12, v19
	s_waitcnt lgkmcnt(0)
	v_mov_b32_dpp v13, v12 row_shr:1 row_mask:0xf bank_mask:0xf
	s_delay_alu instid0(VALU_DEP_1) | instskip(NEXT) | instid1(VALU_DEP_1)
	v_cndmask_b32_e64 v13, v13, 0, s7
	v_add_nc_u32_e32 v12, v13, v12
	s_delay_alu instid0(VALU_DEP_1) | instskip(NEXT) | instid1(VALU_DEP_1)
	v_mov_b32_dpp v13, v12 row_shr:2 row_mask:0xf bank_mask:0xf
	v_cndmask_b32_e64 v13, 0, v13, s6
	s_delay_alu instid0(VALU_DEP_1) | instskip(NEXT) | instid1(VALU_DEP_1)
	v_add_nc_u32_e32 v12, v12, v13
	v_mov_b32_dpp v13, v12 row_shr:4 row_mask:0xf bank_mask:0xf
	s_delay_alu instid0(VALU_DEP_1) | instskip(NEXT) | instid1(VALU_DEP_1)
	v_cndmask_b32_e64 v13, 0, v13, s5
	v_add_nc_u32_e32 v12, v12, v13
	s_delay_alu instid0(VALU_DEP_1) | instskip(NEXT) | instid1(VALU_DEP_1)
	v_mov_b32_dpp v13, v12 row_shr:8 row_mask:0xf bank_mask:0xf
	v_cndmask_b32_e64 v13, 0, v13, s4
	s_delay_alu instid0(VALU_DEP_1) | instskip(SKIP_3) | instid1(VALU_DEP_1)
	v_add_nc_u32_e32 v12, v12, v13
	ds_swizzle_b32 v13, v12 offset:swizzle(BROADCAST,32,15)
	s_waitcnt lgkmcnt(0)
	v_cndmask_b32_e64 v13, v13, 0, s3
	v_add_nc_u32_e32 v12, v12, v13
	ds_store_b32 v19, v12
.LBB22_21:
	s_or_b32 exec_lo, exec_lo, s10
	v_mov_b32_e32 v12, 0
	s_waitcnt lgkmcnt(0)
	s_barrier
	buffer_gl0_inv
	s_and_saveexec_b32 s10, s2
	s_cbranch_execz .LBB22_23
; %bb.22:
	ds_load_b32 v12, v18
.LBB22_23:
	s_or_b32 exec_lo, exec_lo, s10
	s_mov_b32 s13, s12
	s_waitcnt lgkmcnt(0)
	v_add_nc_u32_e32 v3, v12, v3
	s_mov_b32 s11, s12
	ds_bpermute_b32 v3, v17, v3
	s_waitcnt lgkmcnt(0)
	v_cndmask_b32_e64 v3, v3, v12, s0
	s_delay_alu instid0(VALU_DEP_1) | instskip(NEXT) | instid1(VALU_DEP_1)
	v_cndmask_b32_e64 v3, v3, 0, s1
	v_add_nc_u32_e32 v4, v3, v4
	s_delay_alu instid0(VALU_DEP_1) | instskip(NEXT) | instid1(VALU_DEP_1)
	v_add_nc_u32_e32 v5, v4, v5
	v_add_nc_u32_e32 v6, v5, v6
	s_delay_alu instid0(VALU_DEP_1) | instskip(NEXT) | instid1(VALU_DEP_1)
	v_add_nc_u32_e32 v12, v6, v7
	;; [unrolled: 3-line block ×3, first 2 shown]
	v_add_nc_u32_e32 v1, v0, v2
	ds_store_2addr_b64 v15, v[3:4], v[5:6] offset0:16 offset1:17
	ds_store_2addr_b64 v16, v[12:13], v[0:1] offset0:2 offset1:3
	s_waitcnt lgkmcnt(0)
	s_barrier
	buffer_gl0_inv
	ds_load_b32 v0, v11 offset:128
	v_lshlrev_b32_e32 v1, 1, v10
	s_waitcnt lgkmcnt(0)
	s_barrier
	buffer_gl0_inv
	v_lshl_add_u32 v0, v0, 1, v1
	ds_store_b16 v0, v23
	s_waitcnt lgkmcnt(0)
	s_barrier
	buffer_gl0_inv
	ds_load_u16 v10, v22
	s_waitcnt lgkmcnt(0)
	s_barrier
	buffer_gl0_inv
	v_lshrrev_b16 v0, 8, v10
	s_delay_alu instid0(VALU_DEP_1) | instskip(NEXT) | instid1(VALU_DEP_1)
	v_and_b32_e32 v5, 0xffff, v0
	v_and_b32_e32 v0, 1, v5
	v_lshlrev_b32_e32 v1, 30, v5
	v_lshlrev_b32_e32 v2, 29, v5
	;; [unrolled: 1-line block ×4, first 2 shown]
	v_add_co_u32 v0, s10, v0, -1
	s_delay_alu instid0(VALU_DEP_1)
	v_cndmask_b32_e64 v4, 0, 1, s10
	v_not_b32_e32 v12, v1
	v_cmp_gt_i32_e64 s10, 0, v1
	v_not_b32_e32 v1, v2
	v_lshlrev_b32_e32 v7, 26, v5
	v_cmp_ne_u32_e32 vcc_lo, 0, v4
	v_ashrrev_i32_e32 v12, 31, v12
	v_lshlrev_b32_e32 v11, 25, v5
	v_ashrrev_i32_e32 v1, 31, v1
	v_lshlrev_b32_e32 v4, 24, v5
	v_xor_b32_e32 v0, vcc_lo, v0
	v_cmp_gt_i32_e32 vcc_lo, 0, v2
	v_not_b32_e32 v2, v3
	v_xor_b32_e32 v12, s10, v12
	v_cmp_gt_i32_e64 s10, 0, v3
	v_and_b32_e32 v0, exec_lo, v0
	v_not_b32_e32 v3, v6
	v_ashrrev_i32_e32 v2, 31, v2
	v_xor_b32_e32 v1, vcc_lo, v1
	v_cmp_gt_i32_e32 vcc_lo, 0, v6
	v_and_b32_e32 v0, v0, v12
	v_not_b32_e32 v6, v7
	v_ashrrev_i32_e32 v3, 31, v3
	v_xor_b32_e32 v2, s10, v2
	v_cmp_gt_i32_e64 s10, 0, v7
	v_and_b32_e32 v0, v0, v1
	v_not_b32_e32 v1, v11
	v_ashrrev_i32_e32 v6, 31, v6
	v_xor_b32_e32 v3, vcc_lo, v3
	v_cmp_gt_i32_e32 vcc_lo, 0, v11
	v_and_b32_e32 v0, v0, v2
	v_not_b32_e32 v2, v4
	v_ashrrev_i32_e32 v1, 31, v1
	v_xor_b32_e32 v6, s10, v6
	v_cmp_gt_i32_e64 s10, 0, v4
	v_and_b32_e32 v0, v0, v3
	v_ashrrev_i32_e32 v2, 31, v2
	v_xor_b32_e32 v1, vcc_lo, v1
	s_delay_alu instid0(VALU_DEP_3) | instskip(NEXT) | instid1(VALU_DEP_3)
	v_and_b32_e32 v0, v0, v6
	v_xor_b32_e32 v3, s10, v2
	s_mov_b32 s10, s12
	s_delay_alu instid0(VALU_DEP_2) | instskip(SKIP_1) | instid1(VALU_DEP_2)
	v_dual_mov_b32 v1, s12 :: v_dual_and_b32 v0, v0, v1
	v_mov_b32_e32 v2, s13
	v_dual_mov_b32 v3, s10 :: v_dual_and_b32 v0, v0, v3
	v_mov_b32_e32 v4, s11
	ds_store_2addr_b64 v15, v[1:2], v[3:4] offset0:16 offset1:17
	ds_store_2addr_b64 v16, v[1:2], v[3:4] offset0:2 offset1:3
	v_mbcnt_lo_u32_b32 v11, v0, 0
	v_lshlrev_b32_e32 v1, 5, v5
	v_cmp_ne_u32_e64 s10, 0, v0
	s_waitcnt lgkmcnt(0)
	s_barrier
	v_cmp_eq_u32_e32 vcc_lo, 0, v11
	v_add_lshl_u32 v12, v1, v21, 2
	buffer_gl0_inv
	; wave barrier
	s_and_b32 s11, s10, vcc_lo
	s_delay_alu instid0(SALU_CYCLE_1)
	s_and_saveexec_b32 s10, s11
	s_cbranch_execz .LBB22_25
; %bb.24:
	v_bcnt_u32_b32 v0, v0, 0
	ds_store_b32 v12, v0 offset:128
.LBB22_25:
	s_or_b32 exec_lo, exec_lo, s10
	; wave barrier
	s_waitcnt lgkmcnt(0)
	s_barrier
	buffer_gl0_inv
	ds_load_2addr_b64 v[4:7], v15 offset0:16 offset1:17
	ds_load_2addr_b64 v[0:3], v16 offset0:2 offset1:3
	s_waitcnt lgkmcnt(1)
	v_add_nc_u32_e32 v13, v5, v4
	s_delay_alu instid0(VALU_DEP_1) | instskip(SKIP_1) | instid1(VALU_DEP_1)
	v_add3_u32 v13, v13, v6, v7
	s_waitcnt lgkmcnt(0)
	v_add3_u32 v13, v13, v0, v1
	s_delay_alu instid0(VALU_DEP_1) | instskip(NEXT) | instid1(VALU_DEP_1)
	v_add3_u32 v3, v13, v2, v3
	v_mov_b32_dpp v13, v3 row_shr:1 row_mask:0xf bank_mask:0xf
	s_delay_alu instid0(VALU_DEP_1) | instskip(NEXT) | instid1(VALU_DEP_1)
	v_cndmask_b32_e64 v13, v13, 0, s7
	v_add_nc_u32_e32 v3, v13, v3
	s_delay_alu instid0(VALU_DEP_1) | instskip(NEXT) | instid1(VALU_DEP_1)
	v_mov_b32_dpp v13, v3 row_shr:2 row_mask:0xf bank_mask:0xf
	v_cndmask_b32_e64 v13, 0, v13, s6
	s_delay_alu instid0(VALU_DEP_1) | instskip(NEXT) | instid1(VALU_DEP_1)
	v_add_nc_u32_e32 v3, v3, v13
	v_mov_b32_dpp v13, v3 row_shr:4 row_mask:0xf bank_mask:0xf
	s_delay_alu instid0(VALU_DEP_1) | instskip(NEXT) | instid1(VALU_DEP_1)
	v_cndmask_b32_e64 v13, 0, v13, s5
	v_add_nc_u32_e32 v3, v3, v13
	s_delay_alu instid0(VALU_DEP_1) | instskip(NEXT) | instid1(VALU_DEP_1)
	v_mov_b32_dpp v13, v3 row_shr:8 row_mask:0xf bank_mask:0xf
	v_cndmask_b32_e64 v13, 0, v13, s4
	s_delay_alu instid0(VALU_DEP_1) | instskip(SKIP_3) | instid1(VALU_DEP_1)
	v_add_nc_u32_e32 v3, v3, v13
	ds_swizzle_b32 v13, v3 offset:swizzle(BROADCAST,32,15)
	s_waitcnt lgkmcnt(0)
	v_cndmask_b32_e64 v13, v13, 0, s3
	v_add_nc_u32_e32 v3, v3, v13
	s_and_saveexec_b32 s10, s9
	s_cbranch_execz .LBB22_27
; %bb.26:
	ds_store_b32 v20, v3
.LBB22_27:
	s_or_b32 exec_lo, exec_lo, s10
	s_waitcnt lgkmcnt(0)
	s_barrier
	buffer_gl0_inv
	s_and_saveexec_b32 s9, s8
	s_cbranch_execz .LBB22_29
; %bb.28:
	ds_load_b32 v13, v19
	s_waitcnt lgkmcnt(0)
	v_mov_b32_dpp v20, v13 row_shr:1 row_mask:0xf bank_mask:0xf
	s_delay_alu instid0(VALU_DEP_1) | instskip(NEXT) | instid1(VALU_DEP_1)
	v_cndmask_b32_e64 v20, v20, 0, s7
	v_add_nc_u32_e32 v13, v20, v13
	s_delay_alu instid0(VALU_DEP_1) | instskip(NEXT) | instid1(VALU_DEP_1)
	v_mov_b32_dpp v20, v13 row_shr:2 row_mask:0xf bank_mask:0xf
	v_cndmask_b32_e64 v20, 0, v20, s6
	s_delay_alu instid0(VALU_DEP_1) | instskip(NEXT) | instid1(VALU_DEP_1)
	v_add_nc_u32_e32 v13, v13, v20
	v_mov_b32_dpp v20, v13 row_shr:4 row_mask:0xf bank_mask:0xf
	s_delay_alu instid0(VALU_DEP_1) | instskip(NEXT) | instid1(VALU_DEP_1)
	v_cndmask_b32_e64 v20, 0, v20, s5
	v_add_nc_u32_e32 v13, v13, v20
	s_delay_alu instid0(VALU_DEP_1) | instskip(NEXT) | instid1(VALU_DEP_1)
	v_mov_b32_dpp v20, v13 row_shr:8 row_mask:0xf bank_mask:0xf
	v_cndmask_b32_e64 v20, 0, v20, s4
	s_delay_alu instid0(VALU_DEP_1) | instskip(SKIP_3) | instid1(VALU_DEP_1)
	v_add_nc_u32_e32 v13, v13, v20
	ds_swizzle_b32 v20, v13 offset:swizzle(BROADCAST,32,15)
	s_waitcnt lgkmcnt(0)
	v_cndmask_b32_e64 v20, v20, 0, s3
	v_add_nc_u32_e32 v13, v13, v20
	ds_store_b32 v19, v13
.LBB22_29:
	s_or_b32 exec_lo, exec_lo, s9
	v_mov_b32_e32 v13, 0
	s_waitcnt lgkmcnt(0)
	s_barrier
	buffer_gl0_inv
	s_and_saveexec_b32 s3, s2
	s_cbranch_execz .LBB22_31
; %bb.30:
	ds_load_b32 v13, v18
.LBB22_31:
	s_or_b32 exec_lo, exec_lo, s3
	s_waitcnt lgkmcnt(0)
	v_add_nc_u32_e32 v3, v13, v3
	ds_bpermute_b32 v3, v17, v3
	s_waitcnt lgkmcnt(0)
	v_cndmask_b32_e64 v3, v3, v13, s0
	s_delay_alu instid0(VALU_DEP_1) | instskip(NEXT) | instid1(VALU_DEP_1)
	v_cndmask_b32_e64 v3, v3, 0, s1
	v_add_nc_u32_e32 v4, v3, v4
	s_delay_alu instid0(VALU_DEP_1) | instskip(NEXT) | instid1(VALU_DEP_1)
	v_add_nc_u32_e32 v5, v4, v5
	v_add_nc_u32_e32 v6, v5, v6
	s_delay_alu instid0(VALU_DEP_1) | instskip(NEXT) | instid1(VALU_DEP_1)
	v_add_nc_u32_e32 v17, v6, v7
	;; [unrolled: 3-line block ×3, first 2 shown]
	v_add_nc_u32_e32 v1, v0, v2
	ds_store_2addr_b64 v15, v[3:4], v[5:6] offset0:16 offset1:17
	ds_store_2addr_b64 v16, v[17:18], v[0:1] offset0:2 offset1:3
	s_waitcnt lgkmcnt(0)
	s_barrier
	buffer_gl0_inv
	ds_load_b32 v0, v12 offset:128
	v_lshlrev_b32_e32 v1, 1, v11
	s_waitcnt lgkmcnt(0)
	s_barrier
	buffer_gl0_inv
	v_lshl_add_u32 v0, v0, 1, v1
	ds_store_b16 v0, v10
	s_waitcnt lgkmcnt(0)
	s_barrier
.LBB22_32:
	buffer_gl0_inv
	ds_load_u16 v0, v14
	s_waitcnt lgkmcnt(0)
	v_xor_b32_e32 v0, -1, v0
	global_store_b16 v[8:9], v0, off
	s_nop 0
	s_sendmsg sendmsg(MSG_DEALLOC_VGPRS)
	s_endpgm
	.section	.rodata,"a",@progbits
	.p2align	6, 0x0
	.amdhsa_kernel _Z15sort_key_kernelILj1024ELj1ELb0ELb1EtEvPT3_jj
		.amdhsa_group_segment_fixed_size 32896
		.amdhsa_private_segment_fixed_size 0
		.amdhsa_kernarg_size 272
		.amdhsa_user_sgpr_count 15
		.amdhsa_user_sgpr_dispatch_ptr 0
		.amdhsa_user_sgpr_queue_ptr 0
		.amdhsa_user_sgpr_kernarg_segment_ptr 1
		.amdhsa_user_sgpr_dispatch_id 0
		.amdhsa_user_sgpr_private_segment_size 0
		.amdhsa_wavefront_size32 1
		.amdhsa_uses_dynamic_stack 0
		.amdhsa_enable_private_segment 0
		.amdhsa_system_sgpr_workgroup_id_x 1
		.amdhsa_system_sgpr_workgroup_id_y 0
		.amdhsa_system_sgpr_workgroup_id_z 0
		.amdhsa_system_sgpr_workgroup_info 0
		.amdhsa_system_vgpr_workitem_id 2
		.amdhsa_next_free_vgpr 29
		.amdhsa_next_free_sgpr 20
		.amdhsa_reserve_vcc 1
		.amdhsa_float_round_mode_32 0
		.amdhsa_float_round_mode_16_64 0
		.amdhsa_float_denorm_mode_32 3
		.amdhsa_float_denorm_mode_16_64 3
		.amdhsa_dx10_clamp 1
		.amdhsa_ieee_mode 1
		.amdhsa_fp16_overflow 0
		.amdhsa_workgroup_processor_mode 1
		.amdhsa_memory_ordered 1
		.amdhsa_forward_progress 0
		.amdhsa_shared_vgpr_count 0
		.amdhsa_exception_fp_ieee_invalid_op 0
		.amdhsa_exception_fp_denorm_src 0
		.amdhsa_exception_fp_ieee_div_zero 0
		.amdhsa_exception_fp_ieee_overflow 0
		.amdhsa_exception_fp_ieee_underflow 0
		.amdhsa_exception_fp_ieee_inexact 0
		.amdhsa_exception_int_div_zero 0
	.end_amdhsa_kernel
	.section	.text._Z15sort_key_kernelILj1024ELj1ELb0ELb1EtEvPT3_jj,"axG",@progbits,_Z15sort_key_kernelILj1024ELj1ELb0ELb1EtEvPT3_jj,comdat
.Lfunc_end22:
	.size	_Z15sort_key_kernelILj1024ELj1ELb0ELb1EtEvPT3_jj, .Lfunc_end22-_Z15sort_key_kernelILj1024ELj1ELb0ELb1EtEvPT3_jj
                                        ; -- End function
	.section	.AMDGPU.csdata,"",@progbits
; Kernel info:
; codeLenInByte = 3508
; NumSgprs: 22
; NumVgprs: 29
; ScratchSize: 0
; MemoryBound: 0
; FloatMode: 240
; IeeeMode: 1
; LDSByteSize: 32896 bytes/workgroup (compile time only)
; SGPRBlocks: 2
; VGPRBlocks: 3
; NumSGPRsForWavesPerEU: 22
; NumVGPRsForWavesPerEU: 29
; Occupancy: 16
; WaveLimiterHint : 0
; COMPUTE_PGM_RSRC2:SCRATCH_EN: 0
; COMPUTE_PGM_RSRC2:USER_SGPR: 15
; COMPUTE_PGM_RSRC2:TRAP_HANDLER: 0
; COMPUTE_PGM_RSRC2:TGID_X_EN: 1
; COMPUTE_PGM_RSRC2:TGID_Y_EN: 0
; COMPUTE_PGM_RSRC2:TGID_Z_EN: 0
; COMPUTE_PGM_RSRC2:TIDIG_COMP_CNT: 2
	.section	.text._Z15sort_key_kernelILj256ELj1ELb0ELb0EjEvPT3_jj,"axG",@progbits,_Z15sort_key_kernelILj256ELj1ELb0ELb0EjEvPT3_jj,comdat
	.protected	_Z15sort_key_kernelILj256ELj1ELb0ELb0EjEvPT3_jj ; -- Begin function _Z15sort_key_kernelILj256ELj1ELb0ELb0EjEvPT3_jj
	.globl	_Z15sort_key_kernelILj256ELj1ELb0ELb0EjEvPT3_jj
	.p2align	8
	.type	_Z15sort_key_kernelILj256ELj1ELb0ELb0EjEvPT3_jj,@function
_Z15sort_key_kernelILj256ELj1ELb0ELb0EjEvPT3_jj: ; @_Z15sort_key_kernelILj256ELj1ELb0ELb0EjEvPT3_jj
; %bb.0:
	s_clause 0x1
	s_load_b128 s[16:19], s[0:1], 0x0
	s_load_b32 s4, s[0:1], 0x1c
	v_mbcnt_lo_u32_b32 v5, -1, 0
	v_and_b32_e32 v1, 0x3ff, v0
	s_lshl_b32 s14, s15, 8
	s_mov_b32 s15, 0
	v_bfe_u32 v2, v0, 10, 10
	s_lshl_b64 s[2:3], s[14:15], 2
	v_lshlrev_b32_e32 v4, 2, v1
	v_bfe_u32 v0, v0, 20, 10
	s_waitcnt lgkmcnt(0)
	s_add_u32 s0, s16, s2
	s_addc_u32 s1, s17, s3
	s_cmp_eq_u32 s18, 0
	global_load_b32 v22, v4, s[0:1]
	s_cselect_b32 s2, -1, 0
	s_cmp_eq_u32 s19, 32
	v_add_co_u32 v8, s0, s0, v4
	s_cselect_b32 s3, -1, 0
	s_lshr_b32 s5, s4, 16
	s_and_b32 s4, s4, 0xffff
	v_mad_u32_u24 v0, v0, s5, v2
	v_add_nc_u32_e32 v4, -1, v5
	v_add_co_ci_u32_e64 v9, null, s1, 0, s0
	s_and_b32 s13, s2, s3
	s_delay_alu instid0(VALU_DEP_3) | instskip(SKIP_4) | instid1(VALU_DEP_4)
	v_mad_u64_u32 v[2:3], null, v0, s4, v[1:2]
	v_and_b32_e32 v0, 15, v5
	v_cmp_gt_i32_e32 vcc_lo, 0, v4
	v_and_b32_e32 v3, 16, v5
	v_cmp_eq_u32_e64 s0, 0, v5
	v_cmp_eq_u32_e64 s4, 0, v0
	v_lshrrev_b32_e32 v20, 5, v2
	v_cmp_lt_u32_e64 s6, 1, v0
	v_cmp_lt_u32_e64 s12, 3, v0
	;; [unrolled: 1-line block ×3, first 2 shown]
	v_cndmask_b32_e32 v0, v4, v5, vcc_lo
	v_and_b32_e32 v2, 0xe0, v1
	v_cmp_eq_u32_e64 s8, 0, v3
	v_lshrrev_b32_e32 v3, 3, v1
	v_lshlrev_b32_e32 v14, 5, v1
	v_cmp_gt_u32_e64 s3, 8, v1
	v_or_b32_e32 v6, 31, v2
	v_cmp_lt_u32_e64 s2, 31, v1
	v_lshlrev_b32_e32 v17, 2, v0
	v_and_b32_e32 v0, 7, v5
	v_cmp_eq_u32_e64 s1, 0, v1
	v_cmp_eq_u32_e64 s9, v6, v1
	v_and_b32_e32 v19, 28, v3
	v_mul_i32_i24_e32 v1, 0xffffffe4, v1
	v_or_b32_e32 v2, v5, v2
	v_add_nc_u32_e32 v15, 32, v14
	v_cmp_eq_u32_e64 s10, 0, v0
	v_cmp_lt_u32_e64 s7, 1, v0
	v_cmp_lt_u32_e64 s5, 3, v0
	v_add_nc_u32_e32 v18, -4, v19
	v_lshlrev_b32_e32 v21, 2, v2
	v_add_nc_u32_e32 v16, v14, v1
	s_and_b32 vcc_lo, exec_lo, s13
	s_mov_b32 s13, -1
	s_cbranch_vccz .LBB23_3
; %bb.1:
	s_and_b32 vcc_lo, exec_lo, s13
	s_cbranch_vccnz .LBB23_16
.LBB23_2:
	s_waitcnt vmcnt(0)
	buffer_gl0_inv
	ds_load_b32 v0, v16
	s_waitcnt lgkmcnt(0)
	global_store_b32 v[8:9], v0, off
	s_nop 0
	s_sendmsg sendmsg(MSG_DEALLOC_VGPRS)
	s_endpgm
.LBB23_3:
	s_mov_b32 s14, s15
	s_mov_b32 s16, s15
	;; [unrolled: 1-line block ×3, first 2 shown]
	v_dual_mov_b32 v10, s14 :: v_dual_mov_b32 v11, s15
	v_dual_mov_b32 v12, s16 :: v_dual_mov_b32 v13, s17
	s_waitcnt vmcnt(0)
	v_mov_b32_e32 v1, v22
	s_sub_i32 s14, s19, s18
	s_branch .LBB23_5
.LBB23_4:                               ;   in Loop: Header=BB23_5 Depth=1
	s_barrier
	buffer_gl0_inv
	ds_store_b32 v0, v23
	s_waitcnt lgkmcnt(0)
	s_barrier
	buffer_gl0_inv
	ds_load_b32 v1, v21
	s_add_i32 s14, s14, -8
	s_waitcnt lgkmcnt(0)
	s_barrier
	buffer_gl0_inv
	s_cbranch_execz .LBB23_15
.LBB23_5:                               ; =>This Inner Loop Header: Depth=1
	s_delay_alu instid0(VALU_DEP_1)
	v_mov_b32_e32 v23, v1
	s_min_u32 s13, s14, 8
	ds_store_2addr_b64 v14, v[10:11], v[12:13] offset0:4 offset1:5
	ds_store_2addr_b64 v15, v[10:11], v[12:13] offset0:2 offset1:3
	s_waitcnt lgkmcnt(0)
	s_barrier
	v_lshrrev_b32_e32 v0, s18, v23
	buffer_gl0_inv
	; wave barrier
	v_bfe_u32 v1, v0, 0, s13
	s_delay_alu instid0(VALU_DEP_1)
	v_and_b32_e32 v0, 1, v1
	v_lshlrev_b32_e32 v2, 30, v1
	v_lshlrev_b32_e32 v3, 29, v1
	;; [unrolled: 1-line block ×4, first 2 shown]
	v_add_co_u32 v0, s13, v0, -1
	s_delay_alu instid0(VALU_DEP_1)
	v_cndmask_b32_e64 v5, 0, 1, s13
	v_not_b32_e32 v25, v2
	v_cmp_gt_i32_e64 s13, 0, v2
	v_not_b32_e32 v2, v3
	v_lshlrev_b32_e32 v7, 26, v1
	v_cmp_ne_u32_e32 vcc_lo, 0, v5
	v_ashrrev_i32_e32 v25, 31, v25
	v_lshlrev_b32_e32 v24, 25, v1
	v_ashrrev_i32_e32 v2, 31, v2
	v_lshlrev_b32_e32 v5, 24, v1
	v_xor_b32_e32 v0, vcc_lo, v0
	v_cmp_gt_i32_e32 vcc_lo, 0, v3
	v_not_b32_e32 v3, v4
	v_xor_b32_e32 v25, s13, v25
	v_cmp_gt_i32_e64 s13, 0, v4
	v_and_b32_e32 v0, exec_lo, v0
	v_not_b32_e32 v4, v6
	v_ashrrev_i32_e32 v3, 31, v3
	v_xor_b32_e32 v2, vcc_lo, v2
	v_cmp_gt_i32_e32 vcc_lo, 0, v6
	v_and_b32_e32 v0, v0, v25
	v_not_b32_e32 v6, v7
	v_ashrrev_i32_e32 v4, 31, v4
	v_xor_b32_e32 v3, s13, v3
	v_cmp_gt_i32_e64 s13, 0, v7
	v_and_b32_e32 v0, v0, v2
	v_not_b32_e32 v2, v24
	v_ashrrev_i32_e32 v6, 31, v6
	v_xor_b32_e32 v4, vcc_lo, v4
	v_cmp_gt_i32_e32 vcc_lo, 0, v24
	v_and_b32_e32 v0, v0, v3
	v_not_b32_e32 v3, v5
	v_ashrrev_i32_e32 v2, 31, v2
	v_xor_b32_e32 v6, s13, v6
	v_cmp_gt_i32_e64 s13, 0, v5
	v_and_b32_e32 v0, v0, v4
	v_ashrrev_i32_e32 v3, 31, v3
	v_xor_b32_e32 v2, vcc_lo, v2
	v_lshl_add_u32 v1, v1, 3, v20
	s_delay_alu instid0(VALU_DEP_4) | instskip(NEXT) | instid1(VALU_DEP_4)
	v_and_b32_e32 v0, v0, v6
	v_xor_b32_e32 v3, s13, v3
	s_delay_alu instid0(VALU_DEP_3) | instskip(NEXT) | instid1(VALU_DEP_3)
	v_lshl_add_u32 v25, v1, 2, 32
	v_and_b32_e32 v0, v0, v2
	s_delay_alu instid0(VALU_DEP_1) | instskip(NEXT) | instid1(VALU_DEP_1)
	v_and_b32_e32 v0, v0, v3
	v_mbcnt_lo_u32_b32 v24, v0, 0
	v_cmp_ne_u32_e64 s13, 0, v0
	s_delay_alu instid0(VALU_DEP_2) | instskip(NEXT) | instid1(VALU_DEP_2)
	v_cmp_eq_u32_e32 vcc_lo, 0, v24
	s_and_b32 s15, s13, vcc_lo
	s_delay_alu instid0(SALU_CYCLE_1)
	s_and_saveexec_b32 s13, s15
	s_cbranch_execz .LBB23_7
; %bb.6:                                ;   in Loop: Header=BB23_5 Depth=1
	v_bcnt_u32_b32 v0, v0, 0
	ds_store_b32 v25, v0
.LBB23_7:                               ;   in Loop: Header=BB23_5 Depth=1
	s_or_b32 exec_lo, exec_lo, s13
	; wave barrier
	s_waitcnt lgkmcnt(0)
	s_barrier
	buffer_gl0_inv
	ds_load_2addr_b64 v[4:7], v14 offset0:4 offset1:5
	ds_load_2addr_b64 v[0:3], v15 offset0:2 offset1:3
	s_waitcnt lgkmcnt(1)
	v_add_nc_u32_e32 v26, v5, v4
	s_delay_alu instid0(VALU_DEP_1) | instskip(SKIP_1) | instid1(VALU_DEP_1)
	v_add3_u32 v26, v26, v6, v7
	s_waitcnt lgkmcnt(0)
	v_add3_u32 v26, v26, v0, v1
	s_delay_alu instid0(VALU_DEP_1) | instskip(NEXT) | instid1(VALU_DEP_1)
	v_add3_u32 v3, v26, v2, v3
	v_mov_b32_dpp v26, v3 row_shr:1 row_mask:0xf bank_mask:0xf
	s_delay_alu instid0(VALU_DEP_1) | instskip(NEXT) | instid1(VALU_DEP_1)
	v_cndmask_b32_e64 v26, v26, 0, s4
	v_add_nc_u32_e32 v3, v26, v3
	s_delay_alu instid0(VALU_DEP_1) | instskip(NEXT) | instid1(VALU_DEP_1)
	v_mov_b32_dpp v26, v3 row_shr:2 row_mask:0xf bank_mask:0xf
	v_cndmask_b32_e64 v26, 0, v26, s6
	s_delay_alu instid0(VALU_DEP_1) | instskip(NEXT) | instid1(VALU_DEP_1)
	v_add_nc_u32_e32 v3, v3, v26
	v_mov_b32_dpp v26, v3 row_shr:4 row_mask:0xf bank_mask:0xf
	s_delay_alu instid0(VALU_DEP_1) | instskip(NEXT) | instid1(VALU_DEP_1)
	v_cndmask_b32_e64 v26, 0, v26, s12
	v_add_nc_u32_e32 v3, v3, v26
	s_delay_alu instid0(VALU_DEP_1) | instskip(NEXT) | instid1(VALU_DEP_1)
	v_mov_b32_dpp v26, v3 row_shr:8 row_mask:0xf bank_mask:0xf
	v_cndmask_b32_e64 v26, 0, v26, s11
	s_delay_alu instid0(VALU_DEP_1) | instskip(SKIP_3) | instid1(VALU_DEP_1)
	v_add_nc_u32_e32 v3, v3, v26
	ds_swizzle_b32 v26, v3 offset:swizzle(BROADCAST,32,15)
	s_waitcnt lgkmcnt(0)
	v_cndmask_b32_e64 v26, v26, 0, s8
	v_add_nc_u32_e32 v3, v3, v26
	s_and_saveexec_b32 s13, s9
	s_cbranch_execz .LBB23_9
; %bb.8:                                ;   in Loop: Header=BB23_5 Depth=1
	ds_store_b32 v19, v3
.LBB23_9:                               ;   in Loop: Header=BB23_5 Depth=1
	s_or_b32 exec_lo, exec_lo, s13
	s_waitcnt lgkmcnt(0)
	s_barrier
	buffer_gl0_inv
	s_and_saveexec_b32 s13, s3
	s_cbranch_execz .LBB23_11
; %bb.10:                               ;   in Loop: Header=BB23_5 Depth=1
	ds_load_b32 v26, v16
	s_waitcnt lgkmcnt(0)
	v_mov_b32_dpp v27, v26 row_shr:1 row_mask:0xf bank_mask:0xf
	s_delay_alu instid0(VALU_DEP_1) | instskip(NEXT) | instid1(VALU_DEP_1)
	v_cndmask_b32_e64 v27, v27, 0, s10
	v_add_nc_u32_e32 v26, v27, v26
	s_delay_alu instid0(VALU_DEP_1) | instskip(NEXT) | instid1(VALU_DEP_1)
	v_mov_b32_dpp v27, v26 row_shr:2 row_mask:0xf bank_mask:0xf
	v_cndmask_b32_e64 v27, 0, v27, s7
	s_delay_alu instid0(VALU_DEP_1) | instskip(NEXT) | instid1(VALU_DEP_1)
	v_add_nc_u32_e32 v26, v26, v27
	v_mov_b32_dpp v27, v26 row_shr:4 row_mask:0xf bank_mask:0xf
	s_delay_alu instid0(VALU_DEP_1) | instskip(NEXT) | instid1(VALU_DEP_1)
	v_cndmask_b32_e64 v27, 0, v27, s5
	v_add_nc_u32_e32 v26, v26, v27
	ds_store_b32 v16, v26
.LBB23_11:                              ;   in Loop: Header=BB23_5 Depth=1
	s_or_b32 exec_lo, exec_lo, s13
	v_mov_b32_e32 v26, 0
	s_waitcnt lgkmcnt(0)
	s_barrier
	buffer_gl0_inv
	s_and_saveexec_b32 s13, s2
	s_cbranch_execz .LBB23_13
; %bb.12:                               ;   in Loop: Header=BB23_5 Depth=1
	ds_load_b32 v26, v18
.LBB23_13:                              ;   in Loop: Header=BB23_5 Depth=1
	s_or_b32 exec_lo, exec_lo, s13
	s_waitcnt lgkmcnt(0)
	v_add_nc_u32_e32 v3, v26, v3
	s_add_i32 s18, s18, 8
	s_delay_alu instid0(SALU_CYCLE_1) | instskip(SKIP_3) | instid1(VALU_DEP_1)
	s_cmp_ge_u32 s18, s19
	ds_bpermute_b32 v3, v17, v3
	s_waitcnt lgkmcnt(0)
	v_cndmask_b32_e64 v3, v3, v26, s0
	v_cndmask_b32_e64 v3, v3, 0, s1
	s_delay_alu instid0(VALU_DEP_1) | instskip(NEXT) | instid1(VALU_DEP_1)
	v_add_nc_u32_e32 v4, v3, v4
	v_add_nc_u32_e32 v5, v4, v5
	s_delay_alu instid0(VALU_DEP_1) | instskip(NEXT) | instid1(VALU_DEP_1)
	v_add_nc_u32_e32 v6, v5, v6
	v_add_nc_u32_e32 v26, v6, v7
	;; [unrolled: 3-line block ×3, first 2 shown]
	s_delay_alu instid0(VALU_DEP_1)
	v_add_nc_u32_e32 v1, v0, v2
	ds_store_2addr_b64 v14, v[3:4], v[5:6] offset0:4 offset1:5
	ds_store_2addr_b64 v15, v[26:27], v[0:1] offset0:2 offset1:3
	s_waitcnt lgkmcnt(0)
	s_barrier
	buffer_gl0_inv
	ds_load_b32 v0, v25
	v_lshlrev_b32_e32 v1, 2, v24
	s_waitcnt lgkmcnt(0)
	s_delay_alu instid0(VALU_DEP_1)
	v_lshl_add_u32 v0, v0, 2, v1
	s_cbranch_scc0 .LBB23_4
; %bb.14:
                                        ; implicit-def: $vgpr1
                                        ; implicit-def: $sgpr14
.LBB23_15:
	s_barrier
	buffer_gl0_inv
	ds_store_b32 v0, v23
	s_waitcnt lgkmcnt(0)
	s_barrier
	s_branch .LBB23_2
.LBB23_16:
	s_waitcnt vmcnt(0)
	v_and_b32_e32 v0, 1, v22
	v_lshlrev_b32_e32 v1, 30, v22
	v_lshlrev_b32_e32 v2, 29, v22
	;; [unrolled: 1-line block ×4, first 2 shown]
	v_add_co_u32 v0, s13, v0, -1
	s_delay_alu instid0(VALU_DEP_1)
	v_cndmask_b32_e64 v3, 0, 1, s13
	v_not_b32_e32 v7, v1
	v_cmp_gt_i32_e64 s13, 0, v1
	v_not_b32_e32 v1, v2
	v_lshlrev_b32_e32 v6, 26, v22
	v_cmp_ne_u32_e32 vcc_lo, 0, v3
	v_ashrrev_i32_e32 v7, 31, v7
	v_lshlrev_b32_e32 v3, 25, v22
	v_ashrrev_i32_e32 v1, 31, v1
	v_cmp_gt_i32_e64 s14, 0, v5
	v_xor_b32_e32 v0, vcc_lo, v0
	v_cmp_gt_i32_e32 vcc_lo, 0, v2
	v_not_b32_e32 v2, v4
	v_xor_b32_e32 v7, s13, v7
	v_cmp_gt_i32_e64 s13, 0, v4
	v_and_b32_e32 v0, exec_lo, v0
	v_xor_b32_e32 v1, vcc_lo, v1
	v_ashrrev_i32_e32 v2, 31, v2
	v_not_b32_e32 v4, v5
	v_not_b32_e32 v5, v6
	v_and_b32_e32 v0, v0, v7
	v_cmp_gt_i32_e32 vcc_lo, 0, v6
	v_xor_b32_e32 v2, s13, v2
	v_not_b32_e32 v6, v3
	s_delay_alu instid0(VALU_DEP_4) | instskip(SKIP_3) | instid1(VALU_DEP_4)
	v_and_b32_e32 v0, v0, v1
	v_ashrrev_i32_e32 v1, 31, v4
	v_ashrrev_i32_e32 v4, 31, v5
	v_lshlrev_b32_e32 v5, 24, v22
	v_and_b32_e32 v0, v0, v2
	s_delay_alu instid0(VALU_DEP_4) | instskip(NEXT) | instid1(VALU_DEP_4)
	v_xor_b32_e32 v1, s14, v1
	v_xor_b32_e32 v2, vcc_lo, v4
	v_cmp_gt_i32_e32 vcc_lo, 0, v3
	v_not_b32_e32 v3, v5
	v_ashrrev_i32_e32 v4, 31, v6
	v_and_b32_e32 v0, v0, v1
	v_cmp_gt_i32_e64 s13, 0, v5
	v_and_b32_e32 v5, 0xff, v22
	v_ashrrev_i32_e32 v1, 31, v3
	v_xor_b32_e32 v3, vcc_lo, v4
	v_and_b32_e32 v0, v0, v2
	s_mov_b32 s14, 0
	v_lshlrev_b32_e32 v5, 3, v5
	v_xor_b32_e32 v1, s13, v1
	s_mov_b32 s16, s14
	v_and_b32_e32 v0, v0, v3
	s_mov_b32 s15, s14
	s_mov_b32 s17, s14
	s_delay_alu instid0(SALU_CYCLE_1) | instskip(NEXT) | instid1(VALU_DEP_2)
	v_dual_mov_b32 v3, s16 :: v_dual_mov_b32 v4, s17
	v_dual_mov_b32 v1, s14 :: v_dual_and_b32 v0, v0, v1
	v_mov_b32_e32 v2, s15
	v_add_lshl_u32 v11, v5, v20, 2
	ds_store_2addr_b64 v14, v[1:2], v[3:4] offset0:4 offset1:5
	ds_store_2addr_b64 v15, v[1:2], v[3:4] offset0:2 offset1:3
	v_mbcnt_lo_u32_b32 v10, v0, 0
	v_cmp_ne_u32_e64 s13, 0, v0
	s_waitcnt lgkmcnt(0)
	s_barrier
	buffer_gl0_inv
	v_cmp_eq_u32_e32 vcc_lo, 0, v10
	; wave barrier
	s_and_b32 s14, s13, vcc_lo
	s_delay_alu instid0(SALU_CYCLE_1)
	s_and_saveexec_b32 s13, s14
	s_cbranch_execz .LBB23_18
; %bb.17:
	v_bcnt_u32_b32 v0, v0, 0
	ds_store_b32 v11, v0 offset:32
.LBB23_18:
	s_or_b32 exec_lo, exec_lo, s13
	; wave barrier
	s_waitcnt lgkmcnt(0)
	s_barrier
	buffer_gl0_inv
	ds_load_2addr_b64 v[4:7], v14 offset0:4 offset1:5
	ds_load_2addr_b64 v[0:3], v15 offset0:2 offset1:3
	s_waitcnt lgkmcnt(1)
	v_add_nc_u32_e32 v12, v5, v4
	s_delay_alu instid0(VALU_DEP_1) | instskip(SKIP_1) | instid1(VALU_DEP_1)
	v_add3_u32 v12, v12, v6, v7
	s_waitcnt lgkmcnt(0)
	v_add3_u32 v12, v12, v0, v1
	s_delay_alu instid0(VALU_DEP_1) | instskip(NEXT) | instid1(VALU_DEP_1)
	v_add3_u32 v3, v12, v2, v3
	v_mov_b32_dpp v12, v3 row_shr:1 row_mask:0xf bank_mask:0xf
	s_delay_alu instid0(VALU_DEP_1) | instskip(NEXT) | instid1(VALU_DEP_1)
	v_cndmask_b32_e64 v12, v12, 0, s4
	v_add_nc_u32_e32 v3, v12, v3
	s_delay_alu instid0(VALU_DEP_1) | instskip(NEXT) | instid1(VALU_DEP_1)
	v_mov_b32_dpp v12, v3 row_shr:2 row_mask:0xf bank_mask:0xf
	v_cndmask_b32_e64 v12, 0, v12, s6
	s_delay_alu instid0(VALU_DEP_1) | instskip(NEXT) | instid1(VALU_DEP_1)
	v_add_nc_u32_e32 v3, v3, v12
	v_mov_b32_dpp v12, v3 row_shr:4 row_mask:0xf bank_mask:0xf
	s_delay_alu instid0(VALU_DEP_1) | instskip(NEXT) | instid1(VALU_DEP_1)
	v_cndmask_b32_e64 v12, 0, v12, s12
	v_add_nc_u32_e32 v3, v3, v12
	s_delay_alu instid0(VALU_DEP_1) | instskip(NEXT) | instid1(VALU_DEP_1)
	v_mov_b32_dpp v12, v3 row_shr:8 row_mask:0xf bank_mask:0xf
	v_cndmask_b32_e64 v12, 0, v12, s11
	s_delay_alu instid0(VALU_DEP_1) | instskip(SKIP_3) | instid1(VALU_DEP_1)
	v_add_nc_u32_e32 v3, v3, v12
	ds_swizzle_b32 v12, v3 offset:swizzle(BROADCAST,32,15)
	s_waitcnt lgkmcnt(0)
	v_cndmask_b32_e64 v12, v12, 0, s8
	v_add_nc_u32_e32 v3, v3, v12
	s_and_saveexec_b32 s13, s9
	s_cbranch_execz .LBB23_20
; %bb.19:
	ds_store_b32 v19, v3
.LBB23_20:
	s_or_b32 exec_lo, exec_lo, s13
	s_waitcnt lgkmcnt(0)
	s_barrier
	buffer_gl0_inv
	s_and_saveexec_b32 s13, s3
	s_cbranch_execz .LBB23_22
; %bb.21:
	ds_load_b32 v12, v16
	s_waitcnt lgkmcnt(0)
	v_mov_b32_dpp v13, v12 row_shr:1 row_mask:0xf bank_mask:0xf
	s_delay_alu instid0(VALU_DEP_1) | instskip(NEXT) | instid1(VALU_DEP_1)
	v_cndmask_b32_e64 v13, v13, 0, s10
	v_add_nc_u32_e32 v12, v13, v12
	s_delay_alu instid0(VALU_DEP_1) | instskip(NEXT) | instid1(VALU_DEP_1)
	v_mov_b32_dpp v13, v12 row_shr:2 row_mask:0xf bank_mask:0xf
	v_cndmask_b32_e64 v13, 0, v13, s7
	s_delay_alu instid0(VALU_DEP_1) | instskip(NEXT) | instid1(VALU_DEP_1)
	v_add_nc_u32_e32 v12, v12, v13
	v_mov_b32_dpp v13, v12 row_shr:4 row_mask:0xf bank_mask:0xf
	s_delay_alu instid0(VALU_DEP_1) | instskip(NEXT) | instid1(VALU_DEP_1)
	v_cndmask_b32_e64 v13, 0, v13, s5
	v_add_nc_u32_e32 v12, v12, v13
	ds_store_b32 v16, v12
.LBB23_22:
	s_or_b32 exec_lo, exec_lo, s13
	v_mov_b32_e32 v12, 0
	s_waitcnt lgkmcnt(0)
	s_barrier
	buffer_gl0_inv
	s_and_saveexec_b32 s13, s2
	s_cbranch_execz .LBB23_24
; %bb.23:
	ds_load_b32 v12, v18
.LBB23_24:
	s_or_b32 exec_lo, exec_lo, s13
	s_mov_b32 s14, 0
	s_delay_alu instid0(SALU_CYCLE_1)
	s_mov_b32 s15, s14
	s_waitcnt lgkmcnt(0)
	v_add_nc_u32_e32 v3, v12, v3
	s_mov_b32 s16, s14
	s_mov_b32 s17, s14
	ds_bpermute_b32 v3, v17, v3
	s_waitcnt lgkmcnt(0)
	v_cndmask_b32_e64 v3, v3, v12, s0
	s_delay_alu instid0(VALU_DEP_1) | instskip(NEXT) | instid1(VALU_DEP_1)
	v_cndmask_b32_e64 v3, v3, 0, s1
	v_add_nc_u32_e32 v4, v3, v4
	s_delay_alu instid0(VALU_DEP_1) | instskip(NEXT) | instid1(VALU_DEP_1)
	v_add_nc_u32_e32 v5, v4, v5
	v_add_nc_u32_e32 v6, v5, v6
	s_delay_alu instid0(VALU_DEP_1) | instskip(NEXT) | instid1(VALU_DEP_1)
	v_add_nc_u32_e32 v12, v6, v7
	v_add_nc_u32_e32 v13, v12, v0
	s_delay_alu instid0(VALU_DEP_1) | instskip(NEXT) | instid1(VALU_DEP_1)
	v_add_nc_u32_e32 v0, v13, v1
	v_add_nc_u32_e32 v1, v0, v2
	ds_store_2addr_b64 v14, v[3:4], v[5:6] offset0:4 offset1:5
	ds_store_2addr_b64 v15, v[12:13], v[0:1] offset0:2 offset1:3
	s_waitcnt lgkmcnt(0)
	s_barrier
	buffer_gl0_inv
	ds_load_b32 v0, v11 offset:32
	v_lshlrev_b32_e32 v1, 2, v10
	s_waitcnt lgkmcnt(0)
	s_barrier
	buffer_gl0_inv
	v_lshl_add_u32 v0, v0, 2, v1
	ds_store_b32 v0, v22
	s_waitcnt lgkmcnt(0)
	s_barrier
	buffer_gl0_inv
	ds_load_b32 v10, v21
	s_waitcnt lgkmcnt(0)
	s_barrier
	buffer_gl0_inv
	v_bfe_u32 v0, v10, 8, 1
	v_lshrrev_b32_e32 v1, 8, v10
	s_delay_alu instid0(VALU_DEP_2) | instskip(NEXT) | instid1(VALU_DEP_1)
	v_add_co_u32 v0, s13, v0, -1
	v_cndmask_b32_e64 v2, 0, 1, s13
	s_delay_alu instid0(VALU_DEP_3)
	v_lshlrev_b32_e32 v3, 30, v1
	v_lshlrev_b32_e32 v4, 29, v1
	;; [unrolled: 1-line block ×4, first 2 shown]
	v_cmp_ne_u32_e32 vcc_lo, 0, v2
	v_not_b32_e32 v2, v3
	v_cmp_gt_i32_e64 s13, 0, v3
	v_not_b32_e32 v3, v4
	v_lshlrev_b32_e32 v7, 26, v1
	v_xor_b32_e32 v0, vcc_lo, v0
	v_ashrrev_i32_e32 v2, 31, v2
	v_cmp_gt_i32_e32 vcc_lo, 0, v4
	v_not_b32_e32 v4, v5
	v_ashrrev_i32_e32 v3, 31, v3
	v_and_b32_e32 v0, exec_lo, v0
	v_xor_b32_e32 v2, s13, v2
	v_cmp_gt_i32_e64 s13, 0, v5
	v_not_b32_e32 v5, v6
	v_ashrrev_i32_e32 v4, 31, v4
	v_xor_b32_e32 v3, vcc_lo, v3
	v_and_b32_e32 v0, v0, v2
	v_lshlrev_b32_e32 v11, 25, v1
	v_cmp_gt_i32_e32 vcc_lo, 0, v6
	v_not_b32_e32 v2, v7
	v_ashrrev_i32_e32 v5, 31, v5
	v_xor_b32_e32 v4, s13, v4
	v_and_b32_e32 v0, v0, v3
	v_lshlrev_b32_e32 v1, 24, v1
	v_cmp_gt_i32_e64 s13, 0, v7
	v_not_b32_e32 v3, v11
	v_ashrrev_i32_e32 v2, 31, v2
	v_xor_b32_e32 v5, vcc_lo, v5
	v_and_b32_e32 v0, v0, v4
	v_cmp_gt_i32_e32 vcc_lo, 0, v11
	v_not_b32_e32 v4, v1
	v_ashrrev_i32_e32 v3, 31, v3
	v_xor_b32_e32 v2, s13, v2
	v_and_b32_e32 v0, v0, v5
	v_cmp_gt_i32_e64 s13, 0, v1
	v_ashrrev_i32_e32 v1, 31, v4
	v_xor_b32_e32 v3, vcc_lo, v3
	s_delay_alu instid0(VALU_DEP_4) | instskip(NEXT) | instid1(VALU_DEP_3)
	v_and_b32_e32 v0, v0, v2
	v_xor_b32_e32 v5, s13, v1
	v_dual_mov_b32 v1, s14 :: v_dual_mov_b32 v2, s15
	s_delay_alu instid0(VALU_DEP_3)
	v_dual_mov_b32 v3, s16 :: v_dual_and_b32 v0, v0, v3
	v_mov_b32_e32 v4, s17
	ds_store_2addr_b64 v14, v[1:2], v[3:4] offset0:4 offset1:5
	ds_store_2addr_b64 v15, v[1:2], v[3:4] offset0:2 offset1:3
	v_and_b32_e32 v0, v0, v5
	v_lshrrev_b32_e32 v5, 5, v10
	s_waitcnt lgkmcnt(0)
	s_barrier
	buffer_gl0_inv
	v_mbcnt_lo_u32_b32 v11, v0, 0
	v_and_b32_e32 v1, 0x7f8, v5
	v_cmp_ne_u32_e64 s13, 0, v0
	; wave barrier
	s_delay_alu instid0(VALU_DEP_3) | instskip(NEXT) | instid1(VALU_DEP_3)
	v_cmp_eq_u32_e32 vcc_lo, 0, v11
	v_add_lshl_u32 v12, v1, v20, 2
	s_delay_alu instid0(VALU_DEP_3) | instskip(NEXT) | instid1(SALU_CYCLE_1)
	s_and_b32 s14, s13, vcc_lo
	s_and_saveexec_b32 s13, s14
	s_cbranch_execz .LBB23_26
; %bb.25:
	v_bcnt_u32_b32 v0, v0, 0
	ds_store_b32 v12, v0 offset:32
.LBB23_26:
	s_or_b32 exec_lo, exec_lo, s13
	; wave barrier
	s_waitcnt lgkmcnt(0)
	s_barrier
	buffer_gl0_inv
	ds_load_2addr_b64 v[4:7], v14 offset0:4 offset1:5
	ds_load_2addr_b64 v[0:3], v15 offset0:2 offset1:3
	s_waitcnt lgkmcnt(1)
	v_add_nc_u32_e32 v13, v5, v4
	s_delay_alu instid0(VALU_DEP_1) | instskip(SKIP_1) | instid1(VALU_DEP_1)
	v_add3_u32 v13, v13, v6, v7
	s_waitcnt lgkmcnt(0)
	v_add3_u32 v13, v13, v0, v1
	s_delay_alu instid0(VALU_DEP_1) | instskip(NEXT) | instid1(VALU_DEP_1)
	v_add3_u32 v3, v13, v2, v3
	v_mov_b32_dpp v13, v3 row_shr:1 row_mask:0xf bank_mask:0xf
	s_delay_alu instid0(VALU_DEP_1) | instskip(NEXT) | instid1(VALU_DEP_1)
	v_cndmask_b32_e64 v13, v13, 0, s4
	v_add_nc_u32_e32 v3, v13, v3
	s_delay_alu instid0(VALU_DEP_1) | instskip(NEXT) | instid1(VALU_DEP_1)
	v_mov_b32_dpp v13, v3 row_shr:2 row_mask:0xf bank_mask:0xf
	v_cndmask_b32_e64 v13, 0, v13, s6
	s_delay_alu instid0(VALU_DEP_1) | instskip(NEXT) | instid1(VALU_DEP_1)
	v_add_nc_u32_e32 v3, v3, v13
	v_mov_b32_dpp v13, v3 row_shr:4 row_mask:0xf bank_mask:0xf
	s_delay_alu instid0(VALU_DEP_1) | instskip(NEXT) | instid1(VALU_DEP_1)
	v_cndmask_b32_e64 v13, 0, v13, s12
	v_add_nc_u32_e32 v3, v3, v13
	s_delay_alu instid0(VALU_DEP_1) | instskip(NEXT) | instid1(VALU_DEP_1)
	v_mov_b32_dpp v13, v3 row_shr:8 row_mask:0xf bank_mask:0xf
	v_cndmask_b32_e64 v13, 0, v13, s11
	s_delay_alu instid0(VALU_DEP_1) | instskip(SKIP_3) | instid1(VALU_DEP_1)
	v_add_nc_u32_e32 v3, v3, v13
	ds_swizzle_b32 v13, v3 offset:swizzle(BROADCAST,32,15)
	s_waitcnt lgkmcnt(0)
	v_cndmask_b32_e64 v13, v13, 0, s8
	v_add_nc_u32_e32 v3, v3, v13
	s_and_saveexec_b32 s13, s9
	s_cbranch_execz .LBB23_28
; %bb.27:
	ds_store_b32 v19, v3
.LBB23_28:
	s_or_b32 exec_lo, exec_lo, s13
	s_waitcnt lgkmcnt(0)
	s_barrier
	buffer_gl0_inv
	s_and_saveexec_b32 s13, s3
	s_cbranch_execz .LBB23_30
; %bb.29:
	ds_load_b32 v13, v16
	s_waitcnt lgkmcnt(0)
	v_mov_b32_dpp v22, v13 row_shr:1 row_mask:0xf bank_mask:0xf
	s_delay_alu instid0(VALU_DEP_1) | instskip(NEXT) | instid1(VALU_DEP_1)
	v_cndmask_b32_e64 v22, v22, 0, s10
	v_add_nc_u32_e32 v13, v22, v13
	s_delay_alu instid0(VALU_DEP_1) | instskip(NEXT) | instid1(VALU_DEP_1)
	v_mov_b32_dpp v22, v13 row_shr:2 row_mask:0xf bank_mask:0xf
	v_cndmask_b32_e64 v22, 0, v22, s7
	s_delay_alu instid0(VALU_DEP_1) | instskip(NEXT) | instid1(VALU_DEP_1)
	v_add_nc_u32_e32 v13, v13, v22
	v_mov_b32_dpp v22, v13 row_shr:4 row_mask:0xf bank_mask:0xf
	s_delay_alu instid0(VALU_DEP_1) | instskip(NEXT) | instid1(VALU_DEP_1)
	v_cndmask_b32_e64 v22, 0, v22, s5
	v_add_nc_u32_e32 v13, v13, v22
	ds_store_b32 v16, v13
.LBB23_30:
	s_or_b32 exec_lo, exec_lo, s13
	v_mov_b32_e32 v13, 0
	s_waitcnt lgkmcnt(0)
	s_barrier
	buffer_gl0_inv
	s_and_saveexec_b32 s13, s2
	s_cbranch_execz .LBB23_32
; %bb.31:
	ds_load_b32 v13, v18
.LBB23_32:
	s_or_b32 exec_lo, exec_lo, s13
	s_mov_b32 s14, 0
	s_delay_alu instid0(SALU_CYCLE_1)
	s_mov_b32 s15, s14
	s_waitcnt lgkmcnt(0)
	v_add_nc_u32_e32 v3, v13, v3
	s_mov_b32 s16, s14
	s_mov_b32 s17, s14
	ds_bpermute_b32 v3, v17, v3
	s_waitcnt lgkmcnt(0)
	v_cndmask_b32_e64 v3, v3, v13, s0
	s_delay_alu instid0(VALU_DEP_1) | instskip(NEXT) | instid1(VALU_DEP_1)
	v_cndmask_b32_e64 v3, v3, 0, s1
	v_add_nc_u32_e32 v4, v3, v4
	s_delay_alu instid0(VALU_DEP_1) | instskip(NEXT) | instid1(VALU_DEP_1)
	v_add_nc_u32_e32 v5, v4, v5
	v_add_nc_u32_e32 v6, v5, v6
	s_delay_alu instid0(VALU_DEP_1) | instskip(NEXT) | instid1(VALU_DEP_1)
	v_add_nc_u32_e32 v22, v6, v7
	;; [unrolled: 3-line block ×3, first 2 shown]
	v_add_nc_u32_e32 v1, v0, v2
	ds_store_2addr_b64 v14, v[3:4], v[5:6] offset0:4 offset1:5
	ds_store_2addr_b64 v15, v[22:23], v[0:1] offset0:2 offset1:3
	s_waitcnt lgkmcnt(0)
	s_barrier
	buffer_gl0_inv
	ds_load_b32 v0, v12 offset:32
	v_lshlrev_b32_e32 v1, 2, v11
	s_waitcnt lgkmcnt(0)
	s_barrier
	buffer_gl0_inv
	v_lshl_add_u32 v0, v0, 2, v1
	ds_store_b32 v0, v10
	s_waitcnt lgkmcnt(0)
	s_barrier
	buffer_gl0_inv
	ds_load_b32 v10, v21
	s_waitcnt lgkmcnt(0)
	s_barrier
	buffer_gl0_inv
	v_bfe_u32 v0, v10, 16, 1
	v_lshrrev_b32_e32 v1, 16, v10
	s_delay_alu instid0(VALU_DEP_2) | instskip(NEXT) | instid1(VALU_DEP_1)
	v_add_co_u32 v0, s13, v0, -1
	v_cndmask_b32_e64 v2, 0, 1, s13
	s_delay_alu instid0(VALU_DEP_3)
	v_lshlrev_b32_e32 v3, 30, v1
	v_lshlrev_b32_e32 v4, 29, v1
	;; [unrolled: 1-line block ×4, first 2 shown]
	v_cmp_ne_u32_e32 vcc_lo, 0, v2
	v_not_b32_e32 v2, v3
	v_cmp_gt_i32_e64 s13, 0, v3
	v_not_b32_e32 v3, v4
	v_lshlrev_b32_e32 v7, 26, v1
	v_xor_b32_e32 v0, vcc_lo, v0
	v_ashrrev_i32_e32 v2, 31, v2
	v_cmp_gt_i32_e32 vcc_lo, 0, v4
	v_not_b32_e32 v4, v5
	v_ashrrev_i32_e32 v3, 31, v3
	v_and_b32_e32 v0, exec_lo, v0
	v_xor_b32_e32 v2, s13, v2
	v_cmp_gt_i32_e64 s13, 0, v5
	v_not_b32_e32 v5, v6
	v_ashrrev_i32_e32 v4, 31, v4
	v_xor_b32_e32 v3, vcc_lo, v3
	v_and_b32_e32 v0, v0, v2
	v_lshlrev_b32_e32 v11, 25, v1
	v_cmp_gt_i32_e32 vcc_lo, 0, v6
	v_not_b32_e32 v2, v7
	v_ashrrev_i32_e32 v5, 31, v5
	v_xor_b32_e32 v4, s13, v4
	v_and_b32_e32 v0, v0, v3
	v_lshlrev_b32_e32 v1, 24, v1
	v_cmp_gt_i32_e64 s13, 0, v7
	v_not_b32_e32 v3, v11
	v_ashrrev_i32_e32 v2, 31, v2
	v_xor_b32_e32 v5, vcc_lo, v5
	v_and_b32_e32 v0, v0, v4
	v_cmp_gt_i32_e32 vcc_lo, 0, v11
	v_not_b32_e32 v4, v1
	v_ashrrev_i32_e32 v3, 31, v3
	v_xor_b32_e32 v2, s13, v2
	v_and_b32_e32 v0, v0, v5
	v_cmp_gt_i32_e64 s13, 0, v1
	v_ashrrev_i32_e32 v1, 31, v4
	v_xor_b32_e32 v3, vcc_lo, v3
	s_delay_alu instid0(VALU_DEP_4) | instskip(NEXT) | instid1(VALU_DEP_3)
	v_and_b32_e32 v0, v0, v2
	v_xor_b32_e32 v5, s13, v1
	v_dual_mov_b32 v1, s14 :: v_dual_mov_b32 v2, s15
	s_delay_alu instid0(VALU_DEP_3)
	v_dual_mov_b32 v3, s16 :: v_dual_and_b32 v0, v0, v3
	v_mov_b32_e32 v4, s17
	ds_store_2addr_b64 v14, v[1:2], v[3:4] offset0:4 offset1:5
	ds_store_2addr_b64 v15, v[1:2], v[3:4] offset0:2 offset1:3
	v_and_b32_e32 v0, v0, v5
	v_lshrrev_b32_e32 v5, 13, v10
	s_waitcnt lgkmcnt(0)
	s_barrier
	buffer_gl0_inv
	v_mbcnt_lo_u32_b32 v11, v0, 0
	v_and_b32_e32 v1, 0x7f8, v5
	v_cmp_ne_u32_e64 s13, 0, v0
	; wave barrier
	s_delay_alu instid0(VALU_DEP_3) | instskip(NEXT) | instid1(VALU_DEP_3)
	v_cmp_eq_u32_e32 vcc_lo, 0, v11
	v_add_lshl_u32 v12, v1, v20, 2
	s_delay_alu instid0(VALU_DEP_3) | instskip(NEXT) | instid1(SALU_CYCLE_1)
	s_and_b32 s14, s13, vcc_lo
	s_and_saveexec_b32 s13, s14
	s_cbranch_execz .LBB23_34
; %bb.33:
	v_bcnt_u32_b32 v0, v0, 0
	ds_store_b32 v12, v0 offset:32
.LBB23_34:
	s_or_b32 exec_lo, exec_lo, s13
	; wave barrier
	s_waitcnt lgkmcnt(0)
	s_barrier
	buffer_gl0_inv
	ds_load_2addr_b64 v[4:7], v14 offset0:4 offset1:5
	ds_load_2addr_b64 v[0:3], v15 offset0:2 offset1:3
	s_waitcnt lgkmcnt(1)
	v_add_nc_u32_e32 v13, v5, v4
	s_delay_alu instid0(VALU_DEP_1) | instskip(SKIP_1) | instid1(VALU_DEP_1)
	v_add3_u32 v13, v13, v6, v7
	s_waitcnt lgkmcnt(0)
	v_add3_u32 v13, v13, v0, v1
	s_delay_alu instid0(VALU_DEP_1) | instskip(NEXT) | instid1(VALU_DEP_1)
	v_add3_u32 v3, v13, v2, v3
	v_mov_b32_dpp v13, v3 row_shr:1 row_mask:0xf bank_mask:0xf
	s_delay_alu instid0(VALU_DEP_1) | instskip(NEXT) | instid1(VALU_DEP_1)
	v_cndmask_b32_e64 v13, v13, 0, s4
	v_add_nc_u32_e32 v3, v13, v3
	s_delay_alu instid0(VALU_DEP_1) | instskip(NEXT) | instid1(VALU_DEP_1)
	v_mov_b32_dpp v13, v3 row_shr:2 row_mask:0xf bank_mask:0xf
	v_cndmask_b32_e64 v13, 0, v13, s6
	s_delay_alu instid0(VALU_DEP_1) | instskip(NEXT) | instid1(VALU_DEP_1)
	v_add_nc_u32_e32 v3, v3, v13
	v_mov_b32_dpp v13, v3 row_shr:4 row_mask:0xf bank_mask:0xf
	s_delay_alu instid0(VALU_DEP_1) | instskip(NEXT) | instid1(VALU_DEP_1)
	v_cndmask_b32_e64 v13, 0, v13, s12
	v_add_nc_u32_e32 v3, v3, v13
	s_delay_alu instid0(VALU_DEP_1) | instskip(NEXT) | instid1(VALU_DEP_1)
	v_mov_b32_dpp v13, v3 row_shr:8 row_mask:0xf bank_mask:0xf
	v_cndmask_b32_e64 v13, 0, v13, s11
	s_delay_alu instid0(VALU_DEP_1) | instskip(SKIP_3) | instid1(VALU_DEP_1)
	v_add_nc_u32_e32 v3, v3, v13
	ds_swizzle_b32 v13, v3 offset:swizzle(BROADCAST,32,15)
	s_waitcnt lgkmcnt(0)
	v_cndmask_b32_e64 v13, v13, 0, s8
	v_add_nc_u32_e32 v3, v3, v13
	s_and_saveexec_b32 s13, s9
	s_cbranch_execz .LBB23_36
; %bb.35:
	ds_store_b32 v19, v3
.LBB23_36:
	s_or_b32 exec_lo, exec_lo, s13
	s_waitcnt lgkmcnt(0)
	s_barrier
	buffer_gl0_inv
	s_and_saveexec_b32 s13, s3
	s_cbranch_execz .LBB23_38
; %bb.37:
	ds_load_b32 v13, v16
	s_waitcnt lgkmcnt(0)
	v_mov_b32_dpp v22, v13 row_shr:1 row_mask:0xf bank_mask:0xf
	s_delay_alu instid0(VALU_DEP_1) | instskip(NEXT) | instid1(VALU_DEP_1)
	v_cndmask_b32_e64 v22, v22, 0, s10
	v_add_nc_u32_e32 v13, v22, v13
	s_delay_alu instid0(VALU_DEP_1) | instskip(NEXT) | instid1(VALU_DEP_1)
	v_mov_b32_dpp v22, v13 row_shr:2 row_mask:0xf bank_mask:0xf
	v_cndmask_b32_e64 v22, 0, v22, s7
	s_delay_alu instid0(VALU_DEP_1) | instskip(NEXT) | instid1(VALU_DEP_1)
	v_add_nc_u32_e32 v13, v13, v22
	v_mov_b32_dpp v22, v13 row_shr:4 row_mask:0xf bank_mask:0xf
	s_delay_alu instid0(VALU_DEP_1) | instskip(NEXT) | instid1(VALU_DEP_1)
	v_cndmask_b32_e64 v22, 0, v22, s5
	v_add_nc_u32_e32 v13, v13, v22
	ds_store_b32 v16, v13
.LBB23_38:
	s_or_b32 exec_lo, exec_lo, s13
	v_mov_b32_e32 v13, 0
	s_waitcnt lgkmcnt(0)
	s_barrier
	buffer_gl0_inv
	s_and_saveexec_b32 s13, s2
	s_cbranch_execz .LBB23_40
; %bb.39:
	ds_load_b32 v13, v18
.LBB23_40:
	s_or_b32 exec_lo, exec_lo, s13
	s_mov_b32 s14, 0
	s_delay_alu instid0(SALU_CYCLE_1)
	s_mov_b32 s15, s14
	s_waitcnt lgkmcnt(0)
	v_add_nc_u32_e32 v3, v13, v3
	s_mov_b32 s16, s14
	s_mov_b32 s17, s14
	ds_bpermute_b32 v3, v17, v3
	s_waitcnt lgkmcnt(0)
	v_cndmask_b32_e64 v3, v3, v13, s0
	s_delay_alu instid0(VALU_DEP_1) | instskip(NEXT) | instid1(VALU_DEP_1)
	v_cndmask_b32_e64 v3, v3, 0, s1
	v_add_nc_u32_e32 v4, v3, v4
	s_delay_alu instid0(VALU_DEP_1) | instskip(NEXT) | instid1(VALU_DEP_1)
	v_add_nc_u32_e32 v5, v4, v5
	v_add_nc_u32_e32 v6, v5, v6
	s_delay_alu instid0(VALU_DEP_1) | instskip(NEXT) | instid1(VALU_DEP_1)
	v_add_nc_u32_e32 v22, v6, v7
	;; [unrolled: 3-line block ×3, first 2 shown]
	v_add_nc_u32_e32 v1, v0, v2
	ds_store_2addr_b64 v14, v[3:4], v[5:6] offset0:4 offset1:5
	ds_store_2addr_b64 v15, v[22:23], v[0:1] offset0:2 offset1:3
	s_waitcnt lgkmcnt(0)
	s_barrier
	buffer_gl0_inv
	ds_load_b32 v0, v12 offset:32
	v_lshlrev_b32_e32 v1, 2, v11
	s_waitcnt lgkmcnt(0)
	s_barrier
	buffer_gl0_inv
	v_lshl_add_u32 v0, v0, 2, v1
	ds_store_b32 v0, v10
	s_waitcnt lgkmcnt(0)
	s_barrier
	buffer_gl0_inv
	ds_load_b32 v10, v21
	s_waitcnt lgkmcnt(0)
	s_barrier
	buffer_gl0_inv
	v_bfe_u32 v0, v10, 24, 1
	v_lshrrev_b32_e32 v5, 24, v10
	s_delay_alu instid0(VALU_DEP_2) | instskip(NEXT) | instid1(VALU_DEP_1)
	v_add_co_u32 v0, s13, v0, -1
	v_cndmask_b32_e64 v1, 0, 1, s13
	s_delay_alu instid0(VALU_DEP_3)
	v_lshlrev_b32_e32 v2, 30, v5
	v_lshlrev_b32_e32 v3, 29, v5
	;; [unrolled: 1-line block ×4, first 2 shown]
	v_cmp_ne_u32_e32 vcc_lo, 0, v1
	v_not_b32_e32 v1, v2
	v_cmp_gt_i32_e64 s13, 0, v2
	v_not_b32_e32 v2, v3
	v_lshlrev_b32_e32 v7, 26, v5
	v_xor_b32_e32 v0, vcc_lo, v0
	v_ashrrev_i32_e32 v1, 31, v1
	v_cmp_gt_i32_e32 vcc_lo, 0, v3
	v_not_b32_e32 v3, v4
	v_ashrrev_i32_e32 v2, 31, v2
	v_and_b32_e32 v0, exec_lo, v0
	v_xor_b32_e32 v1, s13, v1
	v_cmp_gt_i32_e64 s13, 0, v4
	v_not_b32_e32 v4, v6
	v_ashrrev_i32_e32 v3, 31, v3
	v_xor_b32_e32 v2, vcc_lo, v2
	v_and_b32_e32 v0, v0, v1
	v_lshlrev_b32_e32 v11, 25, v5
	v_cmp_gt_i32_e32 vcc_lo, 0, v6
	v_not_b32_e32 v1, v7
	v_ashrrev_i32_e32 v4, 31, v4
	v_xor_b32_e32 v3, s13, v3
	v_and_b32_e32 v0, v0, v2
	v_cmp_gt_i32_e64 s13, 0, v7
	v_not_b32_e32 v2, v11
	v_ashrrev_i32_e32 v1, 31, v1
	v_xor_b32_e32 v4, vcc_lo, v4
	v_and_b32_e32 v0, v0, v3
	v_not_b32_e32 v3, v10
	v_cmp_gt_i32_e32 vcc_lo, 0, v11
	v_ashrrev_i32_e32 v2, 31, v2
	v_xor_b32_e32 v1, s13, v1
	v_and_b32_e32 v0, v0, v4
	v_cmp_gt_i32_e64 s13, 0, v10
	v_ashrrev_i32_e32 v3, 31, v3
	v_xor_b32_e32 v2, vcc_lo, v2
	s_delay_alu instid0(VALU_DEP_4) | instskip(NEXT) | instid1(VALU_DEP_3)
	v_and_b32_e32 v0, v0, v1
	v_xor_b32_e32 v3, s13, v3
	s_delay_alu instid0(VALU_DEP_2) | instskip(SKIP_1) | instid1(VALU_DEP_2)
	v_dual_mov_b32 v1, s14 :: v_dual_and_b32 v0, v0, v2
	v_mov_b32_e32 v2, s15
	v_dual_mov_b32 v3, s16 :: v_dual_and_b32 v0, v0, v3
	v_mov_b32_e32 v4, s17
	ds_store_2addr_b64 v14, v[1:2], v[3:4] offset0:4 offset1:5
	ds_store_2addr_b64 v15, v[1:2], v[3:4] offset0:2 offset1:3
	v_mbcnt_lo_u32_b32 v11, v0, 0
	v_lshlrev_b32_e32 v1, 3, v5
	v_cmp_ne_u32_e64 s13, 0, v0
	s_waitcnt lgkmcnt(0)
	s_barrier
	v_cmp_eq_u32_e32 vcc_lo, 0, v11
	v_add_lshl_u32 v12, v1, v20, 2
	buffer_gl0_inv
	; wave barrier
	s_and_b32 s14, s13, vcc_lo
	s_delay_alu instid0(SALU_CYCLE_1)
	s_and_saveexec_b32 s13, s14
	s_cbranch_execz .LBB23_42
; %bb.41:
	v_bcnt_u32_b32 v0, v0, 0
	ds_store_b32 v12, v0 offset:32
.LBB23_42:
	s_or_b32 exec_lo, exec_lo, s13
	; wave barrier
	s_waitcnt lgkmcnt(0)
	s_barrier
	buffer_gl0_inv
	ds_load_2addr_b64 v[4:7], v14 offset0:4 offset1:5
	ds_load_2addr_b64 v[0:3], v15 offset0:2 offset1:3
	s_waitcnt lgkmcnt(1)
	v_add_nc_u32_e32 v13, v5, v4
	s_delay_alu instid0(VALU_DEP_1) | instskip(SKIP_1) | instid1(VALU_DEP_1)
	v_add3_u32 v13, v13, v6, v7
	s_waitcnt lgkmcnt(0)
	v_add3_u32 v13, v13, v0, v1
	s_delay_alu instid0(VALU_DEP_1) | instskip(NEXT) | instid1(VALU_DEP_1)
	v_add3_u32 v3, v13, v2, v3
	v_mov_b32_dpp v13, v3 row_shr:1 row_mask:0xf bank_mask:0xf
	s_delay_alu instid0(VALU_DEP_1) | instskip(NEXT) | instid1(VALU_DEP_1)
	v_cndmask_b32_e64 v13, v13, 0, s4
	v_add_nc_u32_e32 v3, v13, v3
	s_delay_alu instid0(VALU_DEP_1) | instskip(NEXT) | instid1(VALU_DEP_1)
	v_mov_b32_dpp v13, v3 row_shr:2 row_mask:0xf bank_mask:0xf
	v_cndmask_b32_e64 v13, 0, v13, s6
	s_delay_alu instid0(VALU_DEP_1) | instskip(NEXT) | instid1(VALU_DEP_1)
	v_add_nc_u32_e32 v3, v3, v13
	v_mov_b32_dpp v13, v3 row_shr:4 row_mask:0xf bank_mask:0xf
	s_delay_alu instid0(VALU_DEP_1) | instskip(NEXT) | instid1(VALU_DEP_1)
	v_cndmask_b32_e64 v13, 0, v13, s12
	v_add_nc_u32_e32 v3, v3, v13
	s_delay_alu instid0(VALU_DEP_1) | instskip(NEXT) | instid1(VALU_DEP_1)
	v_mov_b32_dpp v13, v3 row_shr:8 row_mask:0xf bank_mask:0xf
	v_cndmask_b32_e64 v13, 0, v13, s11
	s_delay_alu instid0(VALU_DEP_1) | instskip(SKIP_3) | instid1(VALU_DEP_1)
	v_add_nc_u32_e32 v3, v3, v13
	ds_swizzle_b32 v13, v3 offset:swizzle(BROADCAST,32,15)
	s_waitcnt lgkmcnt(0)
	v_cndmask_b32_e64 v13, v13, 0, s8
	v_add_nc_u32_e32 v3, v3, v13
	s_and_saveexec_b32 s4, s9
	s_cbranch_execz .LBB23_44
; %bb.43:
	ds_store_b32 v19, v3
.LBB23_44:
	s_or_b32 exec_lo, exec_lo, s4
	s_waitcnt lgkmcnt(0)
	s_barrier
	buffer_gl0_inv
	s_and_saveexec_b32 s4, s3
	s_cbranch_execz .LBB23_46
; %bb.45:
	ds_load_b32 v13, v16
	s_waitcnt lgkmcnt(0)
	v_mov_b32_dpp v19, v13 row_shr:1 row_mask:0xf bank_mask:0xf
	s_delay_alu instid0(VALU_DEP_1) | instskip(NEXT) | instid1(VALU_DEP_1)
	v_cndmask_b32_e64 v19, v19, 0, s10
	v_add_nc_u32_e32 v13, v19, v13
	s_delay_alu instid0(VALU_DEP_1) | instskip(NEXT) | instid1(VALU_DEP_1)
	v_mov_b32_dpp v19, v13 row_shr:2 row_mask:0xf bank_mask:0xf
	v_cndmask_b32_e64 v19, 0, v19, s7
	s_delay_alu instid0(VALU_DEP_1) | instskip(NEXT) | instid1(VALU_DEP_1)
	v_add_nc_u32_e32 v13, v13, v19
	v_mov_b32_dpp v19, v13 row_shr:4 row_mask:0xf bank_mask:0xf
	s_delay_alu instid0(VALU_DEP_1) | instskip(NEXT) | instid1(VALU_DEP_1)
	v_cndmask_b32_e64 v19, 0, v19, s5
	v_add_nc_u32_e32 v13, v13, v19
	ds_store_b32 v16, v13
.LBB23_46:
	s_or_b32 exec_lo, exec_lo, s4
	v_mov_b32_e32 v13, 0
	s_waitcnt lgkmcnt(0)
	s_barrier
	buffer_gl0_inv
	s_and_saveexec_b32 s3, s2
	s_cbranch_execz .LBB23_48
; %bb.47:
	ds_load_b32 v13, v18
.LBB23_48:
	s_or_b32 exec_lo, exec_lo, s3
	s_waitcnt lgkmcnt(0)
	v_add_nc_u32_e32 v3, v13, v3
	ds_bpermute_b32 v3, v17, v3
	s_waitcnt lgkmcnt(0)
	v_cndmask_b32_e64 v3, v3, v13, s0
	s_delay_alu instid0(VALU_DEP_1) | instskip(NEXT) | instid1(VALU_DEP_1)
	v_cndmask_b32_e64 v3, v3, 0, s1
	v_add_nc_u32_e32 v4, v3, v4
	s_delay_alu instid0(VALU_DEP_1) | instskip(NEXT) | instid1(VALU_DEP_1)
	v_add_nc_u32_e32 v5, v4, v5
	v_add_nc_u32_e32 v6, v5, v6
	s_delay_alu instid0(VALU_DEP_1) | instskip(NEXT) | instid1(VALU_DEP_1)
	v_add_nc_u32_e32 v17, v6, v7
	;; [unrolled: 3-line block ×3, first 2 shown]
	v_add_nc_u32_e32 v1, v0, v2
	ds_store_2addr_b64 v14, v[3:4], v[5:6] offset0:4 offset1:5
	ds_store_2addr_b64 v15, v[17:18], v[0:1] offset0:2 offset1:3
	s_waitcnt lgkmcnt(0)
	s_barrier
	buffer_gl0_inv
	ds_load_b32 v0, v12 offset:32
	v_lshlrev_b32_e32 v1, 2, v11
	s_waitcnt lgkmcnt(0)
	s_barrier
	buffer_gl0_inv
	v_lshl_add_u32 v0, v0, 2, v1
	ds_store_b32 v0, v10
	s_waitcnt lgkmcnt(0)
	s_barrier
	buffer_gl0_inv
	ds_load_b32 v0, v16
	s_waitcnt lgkmcnt(0)
	global_store_b32 v[8:9], v0, off
	s_nop 0
	s_sendmsg sendmsg(MSG_DEALLOC_VGPRS)
	s_endpgm
	.section	.rodata,"a",@progbits
	.p2align	6, 0x0
	.amdhsa_kernel _Z15sort_key_kernelILj256ELj1ELb0ELb0EjEvPT3_jj
		.amdhsa_group_segment_fixed_size 8224
		.amdhsa_private_segment_fixed_size 0
		.amdhsa_kernarg_size 272
		.amdhsa_user_sgpr_count 15
		.amdhsa_user_sgpr_dispatch_ptr 0
		.amdhsa_user_sgpr_queue_ptr 0
		.amdhsa_user_sgpr_kernarg_segment_ptr 1
		.amdhsa_user_sgpr_dispatch_id 0
		.amdhsa_user_sgpr_private_segment_size 0
		.amdhsa_wavefront_size32 1
		.amdhsa_uses_dynamic_stack 0
		.amdhsa_enable_private_segment 0
		.amdhsa_system_sgpr_workgroup_id_x 1
		.amdhsa_system_sgpr_workgroup_id_y 0
		.amdhsa_system_sgpr_workgroup_id_z 0
		.amdhsa_system_sgpr_workgroup_info 0
		.amdhsa_system_vgpr_workitem_id 2
		.amdhsa_next_free_vgpr 28
		.amdhsa_next_free_sgpr 20
		.amdhsa_reserve_vcc 1
		.amdhsa_float_round_mode_32 0
		.amdhsa_float_round_mode_16_64 0
		.amdhsa_float_denorm_mode_32 3
		.amdhsa_float_denorm_mode_16_64 3
		.amdhsa_dx10_clamp 1
		.amdhsa_ieee_mode 1
		.amdhsa_fp16_overflow 0
		.amdhsa_workgroup_processor_mode 1
		.amdhsa_memory_ordered 1
		.amdhsa_forward_progress 0
		.amdhsa_shared_vgpr_count 0
		.amdhsa_exception_fp_ieee_invalid_op 0
		.amdhsa_exception_fp_denorm_src 0
		.amdhsa_exception_fp_ieee_div_zero 0
		.amdhsa_exception_fp_ieee_overflow 0
		.amdhsa_exception_fp_ieee_underflow 0
		.amdhsa_exception_fp_ieee_inexact 0
		.amdhsa_exception_int_div_zero 0
	.end_amdhsa_kernel
	.section	.text._Z15sort_key_kernelILj256ELj1ELb0ELb0EjEvPT3_jj,"axG",@progbits,_Z15sort_key_kernelILj256ELj1ELb0ELb0EjEvPT3_jj,comdat
.Lfunc_end23:
	.size	_Z15sort_key_kernelILj256ELj1ELb0ELb0EjEvPT3_jj, .Lfunc_end23-_Z15sort_key_kernelILj256ELj1ELb0ELb0EjEvPT3_jj
                                        ; -- End function
	.section	.AMDGPU.csdata,"",@progbits
; Kernel info:
; codeLenInByte = 5332
; NumSgprs: 22
; NumVgprs: 28
; ScratchSize: 0
; MemoryBound: 0
; FloatMode: 240
; IeeeMode: 1
; LDSByteSize: 8224 bytes/workgroup (compile time only)
; SGPRBlocks: 2
; VGPRBlocks: 3
; NumSGPRsForWavesPerEU: 22
; NumVGPRsForWavesPerEU: 28
; Occupancy: 16
; WaveLimiterHint : 0
; COMPUTE_PGM_RSRC2:SCRATCH_EN: 0
; COMPUTE_PGM_RSRC2:USER_SGPR: 15
; COMPUTE_PGM_RSRC2:TRAP_HANDLER: 0
; COMPUTE_PGM_RSRC2:TGID_X_EN: 1
; COMPUTE_PGM_RSRC2:TGID_Y_EN: 0
; COMPUTE_PGM_RSRC2:TGID_Z_EN: 0
; COMPUTE_PGM_RSRC2:TIDIG_COMP_CNT: 2
	.section	.text._Z15sort_key_kernelILj128ELj1ELb0ELb0EiEvPT3_jj,"axG",@progbits,_Z15sort_key_kernelILj128ELj1ELb0ELb0EiEvPT3_jj,comdat
	.protected	_Z15sort_key_kernelILj128ELj1ELb0ELb0EiEvPT3_jj ; -- Begin function _Z15sort_key_kernelILj128ELj1ELb0ELb0EiEvPT3_jj
	.globl	_Z15sort_key_kernelILj128ELj1ELb0ELb0EiEvPT3_jj
	.p2align	8
	.type	_Z15sort_key_kernelILj128ELj1ELb0ELb0EiEvPT3_jj,@function
_Z15sort_key_kernelILj128ELj1ELb0ELb0EiEvPT3_jj: ; @_Z15sort_key_kernelILj128ELj1ELb0ELb0EiEvPT3_jj
; %bb.0:
	s_load_b128 s[16:19], s[0:1], 0x0
	v_mbcnt_lo_u32_b32 v2, -1, 0
	s_mov_b32 s13, 0
	s_lshl_b32 s12, s15, 7
	v_bfe_u32 v3, v0, 10, 10
	s_lshl_b64 s[2:3], s[12:13], 2
	s_load_b32 s12, s[0:1], 0x1c
	v_add_nc_u32_e32 v7, -1, v2
	v_and_b32_e32 v6, 16, v2
	v_and_b32_e32 v5, 15, v2
	;; [unrolled: 1-line block ×3, first 2 shown]
	v_cmp_eq_u32_e64 s0, 0, v2
	v_cmp_gt_i32_e32 vcc_lo, 0, v7
	v_and_b32_e32 v1, 0x3ff, v0
	v_cmp_eq_u32_e64 s6, 0, v6
	v_bfe_u32 v0, v0, 20, 10
	v_cmp_eq_u32_e64 s10, 0, v5
	v_cndmask_b32_e32 v6, v7, v2, vcc_lo
	v_lshlrev_b32_e32 v4, 2, v1
	v_cmp_lt_u32_e64 s9, 1, v5
	s_waitcnt lgkmcnt(0)
	s_add_u32 s14, s16, s2
	s_addc_u32 s15, s17, s3
	s_cmp_eq_u32 s18, 0
	global_load_b32 v23, v4, s[14:15]
	s_cselect_b32 s16, -1, 0
	s_cmp_eq_u32 s19, 32
	v_cmp_lt_u32_e64 s8, 3, v5
	s_cselect_b32 s17, -1, 0
	s_lshr_b32 s11, s12, 16
	v_cmp_lt_u32_e64 s7, 7, v5
	v_and_b32_e32 v5, 0x60, v1
	v_mad_u32_u24 v0, v0, s11, v3
	v_lshrrev_b32_e32 v7, 3, v1
	s_and_b32 s12, s12, 0xffff
	v_cmp_eq_u32_e64 s5, 0, v8
	v_cmp_lt_u32_e64 s3, 1, v8
	v_or_b32_e32 v8, 31, v5
	v_or_b32_e32 v5, v2, v5
	v_mad_u64_u32 v[2:3], null, v0, s12, v[1:2]
	v_lshlrev_b32_e32 v14, 5, v1
	v_mul_i32_i24_e32 v10, 0xffffffe4, v1
	v_and_b32_e32 v19, 12, v7
	v_cmp_eq_u32_e64 s11, v8, v1
	v_add_co_u32 v8, s14, s14, v4
	v_cmp_gt_u32_e64 s4, 4, v1
	v_cmp_lt_u32_e64 s2, 31, v1
	v_cmp_eq_u32_e64 s1, 0, v1
	v_or_b32_e32 v15, 16, v14
	v_lshlrev_b32_e32 v17, 2, v6
	v_add_nc_u32_e32 v18, -4, v19
	v_lshlrev_b32_e32 v21, 2, v5
	v_add_co_ci_u32_e64 v9, null, s15, 0, s14
	v_lshrrev_b32_e32 v20, 5, v2
	v_add_nc_u32_e32 v16, v14, v10
	s_and_b32 s12, s16, s17
	s_delay_alu instid0(SALU_CYCLE_1)
	s_and_b32 vcc_lo, exec_lo, s12
	s_mov_b32 s12, -1
	s_waitcnt vmcnt(0)
	v_xor_b32_e32 v22, 0x80000000, v23
	s_cbranch_vccnz .LBB24_14
; %bb.1:
	s_mov_b32 s12, s13
	s_mov_b32 s14, s13
	;; [unrolled: 1-line block ×3, first 2 shown]
	v_dual_mov_b32 v10, s12 :: v_dual_mov_b32 v11, s13
	v_dual_mov_b32 v12, s14 :: v_dual_mov_b32 v13, s15
	v_mov_b32_e32 v1, v22
	s_sub_i32 s13, s19, s18
	s_branch .LBB24_3
.LBB24_2:                               ;   in Loop: Header=BB24_3 Depth=1
	s_barrier
	buffer_gl0_inv
	ds_store_b32 v0, v24
	s_waitcnt lgkmcnt(0)
	s_barrier
	buffer_gl0_inv
	ds_load_b32 v1, v21
	s_add_i32 s13, s13, -8
	s_waitcnt lgkmcnt(0)
	s_barrier
	buffer_gl0_inv
	s_cbranch_execz .LBB24_13
.LBB24_3:                               ; =>This Inner Loop Header: Depth=1
	s_delay_alu instid0(VALU_DEP_1)
	v_mov_b32_e32 v24, v1
	s_min_u32 s12, s13, 8
	ds_store_2addr_b64 v14, v[10:11], v[12:13] offset0:2 offset1:3
	ds_store_2addr_b64 v15, v[10:11], v[12:13] offset0:2 offset1:3
	s_waitcnt lgkmcnt(0)
	s_barrier
	v_lshrrev_b32_e32 v0, s18, v24
	buffer_gl0_inv
	; wave barrier
	v_bfe_u32 v1, v0, 0, s12
	s_delay_alu instid0(VALU_DEP_1)
	v_lshlrev_b32_e32 v3, 29, v1
	v_and_b32_e32 v0, 1, v1
	v_lshlrev_b32_e32 v2, 30, v1
	v_lshlrev_b32_e32 v4, 28, v1
	;; [unrolled: 1-line block ×4, first 2 shown]
	v_add_co_u32 v0, s12, v0, -1
	s_delay_alu instid0(VALU_DEP_1)
	v_cndmask_b32_e64 v5, 0, 1, s12
	v_not_b32_e32 v26, v2
	v_cmp_gt_i32_e64 s12, 0, v2
	v_not_b32_e32 v2, v3
	v_lshlrev_b32_e32 v25, 25, v1
	v_cmp_ne_u32_e32 vcc_lo, 0, v5
	v_ashrrev_i32_e32 v26, 31, v26
	v_lshlrev_b32_e32 v5, 24, v1
	v_ashrrev_i32_e32 v2, 31, v2
	v_lshl_add_u32 v1, v1, 2, v20
	v_xor_b32_e32 v0, vcc_lo, v0
	v_cmp_gt_i32_e32 vcc_lo, 0, v3
	v_not_b32_e32 v3, v4
	v_xor_b32_e32 v26, s12, v26
	v_cmp_gt_i32_e64 s12, 0, v4
	v_and_b32_e32 v0, exec_lo, v0
	v_not_b32_e32 v4, v6
	v_ashrrev_i32_e32 v3, 31, v3
	v_xor_b32_e32 v2, vcc_lo, v2
	v_cmp_gt_i32_e32 vcc_lo, 0, v6
	v_and_b32_e32 v0, v0, v26
	v_not_b32_e32 v6, v7
	v_ashrrev_i32_e32 v4, 31, v4
	v_xor_b32_e32 v3, s12, v3
	v_cmp_gt_i32_e64 s12, 0, v7
	v_and_b32_e32 v0, v0, v2
	v_not_b32_e32 v2, v25
	v_ashrrev_i32_e32 v6, 31, v6
	v_xor_b32_e32 v4, vcc_lo, v4
	v_cmp_gt_i32_e32 vcc_lo, 0, v25
	v_and_b32_e32 v0, v0, v3
	v_not_b32_e32 v3, v5
	v_ashrrev_i32_e32 v2, 31, v2
	v_xor_b32_e32 v6, s12, v6
	v_cmp_gt_i32_e64 s12, 0, v5
	v_and_b32_e32 v0, v0, v4
	v_ashrrev_i32_e32 v3, 31, v3
	v_xor_b32_e32 v2, vcc_lo, v2
	v_lshl_add_u32 v26, v1, 2, 16
	s_delay_alu instid0(VALU_DEP_4) | instskip(NEXT) | instid1(VALU_DEP_4)
	v_and_b32_e32 v0, v0, v6
	v_xor_b32_e32 v3, s12, v3
	s_delay_alu instid0(VALU_DEP_2) | instskip(NEXT) | instid1(VALU_DEP_1)
	v_and_b32_e32 v0, v0, v2
	v_and_b32_e32 v0, v0, v3
	s_delay_alu instid0(VALU_DEP_1) | instskip(SKIP_1) | instid1(VALU_DEP_2)
	v_mbcnt_lo_u32_b32 v25, v0, 0
	v_cmp_ne_u32_e64 s12, 0, v0
	v_cmp_eq_u32_e32 vcc_lo, 0, v25
	s_delay_alu instid0(VALU_DEP_2) | instskip(NEXT) | instid1(SALU_CYCLE_1)
	s_and_b32 s14, s12, vcc_lo
	s_and_saveexec_b32 s12, s14
	s_cbranch_execz .LBB24_5
; %bb.4:                                ;   in Loop: Header=BB24_3 Depth=1
	v_bcnt_u32_b32 v0, v0, 0
	ds_store_b32 v26, v0
.LBB24_5:                               ;   in Loop: Header=BB24_3 Depth=1
	s_or_b32 exec_lo, exec_lo, s12
	; wave barrier
	s_waitcnt lgkmcnt(0)
	s_barrier
	buffer_gl0_inv
	ds_load_2addr_b64 v[4:7], v14 offset0:2 offset1:3
	ds_load_2addr_b64 v[0:3], v15 offset0:2 offset1:3
	s_waitcnt lgkmcnt(1)
	v_add_nc_u32_e32 v27, v5, v4
	s_delay_alu instid0(VALU_DEP_1) | instskip(SKIP_1) | instid1(VALU_DEP_1)
	v_add3_u32 v27, v27, v6, v7
	s_waitcnt lgkmcnt(0)
	v_add3_u32 v27, v27, v0, v1
	s_delay_alu instid0(VALU_DEP_1) | instskip(NEXT) | instid1(VALU_DEP_1)
	v_add3_u32 v3, v27, v2, v3
	v_mov_b32_dpp v27, v3 row_shr:1 row_mask:0xf bank_mask:0xf
	s_delay_alu instid0(VALU_DEP_1) | instskip(NEXT) | instid1(VALU_DEP_1)
	v_cndmask_b32_e64 v27, v27, 0, s10
	v_add_nc_u32_e32 v3, v27, v3
	s_delay_alu instid0(VALU_DEP_1) | instskip(NEXT) | instid1(VALU_DEP_1)
	v_mov_b32_dpp v27, v3 row_shr:2 row_mask:0xf bank_mask:0xf
	v_cndmask_b32_e64 v27, 0, v27, s9
	s_delay_alu instid0(VALU_DEP_1) | instskip(NEXT) | instid1(VALU_DEP_1)
	v_add_nc_u32_e32 v3, v3, v27
	v_mov_b32_dpp v27, v3 row_shr:4 row_mask:0xf bank_mask:0xf
	s_delay_alu instid0(VALU_DEP_1) | instskip(NEXT) | instid1(VALU_DEP_1)
	v_cndmask_b32_e64 v27, 0, v27, s8
	v_add_nc_u32_e32 v3, v3, v27
	s_delay_alu instid0(VALU_DEP_1) | instskip(NEXT) | instid1(VALU_DEP_1)
	v_mov_b32_dpp v27, v3 row_shr:8 row_mask:0xf bank_mask:0xf
	v_cndmask_b32_e64 v27, 0, v27, s7
	s_delay_alu instid0(VALU_DEP_1) | instskip(SKIP_3) | instid1(VALU_DEP_1)
	v_add_nc_u32_e32 v3, v3, v27
	ds_swizzle_b32 v27, v3 offset:swizzle(BROADCAST,32,15)
	s_waitcnt lgkmcnt(0)
	v_cndmask_b32_e64 v27, v27, 0, s6
	v_add_nc_u32_e32 v3, v3, v27
	s_and_saveexec_b32 s12, s11
	s_cbranch_execz .LBB24_7
; %bb.6:                                ;   in Loop: Header=BB24_3 Depth=1
	ds_store_b32 v19, v3
.LBB24_7:                               ;   in Loop: Header=BB24_3 Depth=1
	s_or_b32 exec_lo, exec_lo, s12
	s_waitcnt lgkmcnt(0)
	s_barrier
	buffer_gl0_inv
	s_and_saveexec_b32 s12, s4
	s_cbranch_execz .LBB24_9
; %bb.8:                                ;   in Loop: Header=BB24_3 Depth=1
	ds_load_b32 v27, v16
	s_waitcnt lgkmcnt(0)
	v_mov_b32_dpp v28, v27 row_shr:1 row_mask:0xf bank_mask:0xf
	s_delay_alu instid0(VALU_DEP_1) | instskip(NEXT) | instid1(VALU_DEP_1)
	v_cndmask_b32_e64 v28, v28, 0, s5
	v_add_nc_u32_e32 v27, v28, v27
	s_delay_alu instid0(VALU_DEP_1) | instskip(NEXT) | instid1(VALU_DEP_1)
	v_mov_b32_dpp v28, v27 row_shr:2 row_mask:0xf bank_mask:0xf
	v_cndmask_b32_e64 v28, 0, v28, s3
	s_delay_alu instid0(VALU_DEP_1)
	v_add_nc_u32_e32 v27, v27, v28
	ds_store_b32 v16, v27
.LBB24_9:                               ;   in Loop: Header=BB24_3 Depth=1
	s_or_b32 exec_lo, exec_lo, s12
	v_mov_b32_e32 v27, 0
	s_waitcnt lgkmcnt(0)
	s_barrier
	buffer_gl0_inv
	s_and_saveexec_b32 s12, s2
	s_cbranch_execz .LBB24_11
; %bb.10:                               ;   in Loop: Header=BB24_3 Depth=1
	ds_load_b32 v27, v18
.LBB24_11:                              ;   in Loop: Header=BB24_3 Depth=1
	s_or_b32 exec_lo, exec_lo, s12
	s_waitcnt lgkmcnt(0)
	v_add_nc_u32_e32 v3, v27, v3
	s_add_i32 s18, s18, 8
	s_delay_alu instid0(SALU_CYCLE_1) | instskip(SKIP_3) | instid1(VALU_DEP_1)
	s_cmp_ge_u32 s18, s19
	ds_bpermute_b32 v3, v17, v3
	s_waitcnt lgkmcnt(0)
	v_cndmask_b32_e64 v3, v3, v27, s0
	v_cndmask_b32_e64 v3, v3, 0, s1
	s_delay_alu instid0(VALU_DEP_1) | instskip(NEXT) | instid1(VALU_DEP_1)
	v_add_nc_u32_e32 v4, v3, v4
	v_add_nc_u32_e32 v5, v4, v5
	s_delay_alu instid0(VALU_DEP_1) | instskip(NEXT) | instid1(VALU_DEP_1)
	v_add_nc_u32_e32 v6, v5, v6
	v_add_nc_u32_e32 v27, v6, v7
	;; [unrolled: 3-line block ×3, first 2 shown]
	s_delay_alu instid0(VALU_DEP_1)
	v_add_nc_u32_e32 v1, v0, v2
	ds_store_2addr_b64 v14, v[3:4], v[5:6] offset0:2 offset1:3
	ds_store_2addr_b64 v15, v[27:28], v[0:1] offset0:2 offset1:3
	s_waitcnt lgkmcnt(0)
	s_barrier
	buffer_gl0_inv
	ds_load_b32 v0, v26
	v_lshlrev_b32_e32 v1, 2, v25
	s_waitcnt lgkmcnt(0)
	s_delay_alu instid0(VALU_DEP_1)
	v_lshl_add_u32 v0, v0, 2, v1
	s_cbranch_scc0 .LBB24_2
; %bb.12:
                                        ; implicit-def: $vgpr1
                                        ; implicit-def: $sgpr13
.LBB24_13:
	s_mov_b32 s12, 0
	s_barrier
	buffer_gl0_inv
	ds_store_b32 v0, v24
	s_waitcnt lgkmcnt(0)
	s_barrier
.LBB24_14:
	s_and_b32 vcc_lo, exec_lo, s12
	s_cbranch_vccz .LBB24_48
; %bb.15:
	s_mov_b32 s14, 0
	v_lshlrev_b32_e32 v2, 29, v23
	s_mov_b32 s15, s14
	v_and_b32_e32 v0, 1, v23
	v_lshlrev_b32_e32 v1, 30, v23
	v_lshlrev_b32_e32 v4, 28, v23
	;; [unrolled: 1-line block ×4, first 2 shown]
	v_add_co_u32 v0, s12, v0, -1
	s_delay_alu instid0(VALU_DEP_1)
	v_cndmask_b32_e64 v3, 0, 1, s12
	v_not_b32_e32 v7, v1
	v_cmp_gt_i32_e64 s12, 0, v1
	v_not_b32_e32 v1, v2
	v_cmp_gt_i32_e64 s13, 0, v5
	v_cmp_ne_u32_e32 vcc_lo, 0, v3
	v_ashrrev_i32_e32 v7, 31, v7
	v_lshlrev_b32_e32 v3, 25, v23
	v_ashrrev_i32_e32 v1, 31, v1
	v_xor_b32_e32 v0, vcc_lo, v0
	v_cmp_gt_i32_e32 vcc_lo, 0, v2
	v_not_b32_e32 v2, v4
	v_xor_b32_e32 v7, s12, v7
	v_cmp_gt_i32_e64 s12, 0, v4
	v_and_b32_e32 v0, exec_lo, v0
	v_xor_b32_e32 v1, vcc_lo, v1
	v_ashrrev_i32_e32 v2, 31, v2
	v_not_b32_e32 v4, v5
	v_not_b32_e32 v5, v6
	v_and_b32_e32 v0, v0, v7
	v_cmp_gt_i32_e32 vcc_lo, 0, v6
	v_xor_b32_e32 v2, s12, v2
	v_not_b32_e32 v6, v3
	s_delay_alu instid0(VALU_DEP_4) | instskip(SKIP_3) | instid1(VALU_DEP_4)
	v_and_b32_e32 v0, v0, v1
	v_ashrrev_i32_e32 v1, 31, v4
	v_ashrrev_i32_e32 v4, 31, v5
	v_lshlrev_b32_e32 v5, 24, v23
	v_and_b32_e32 v0, v0, v2
	s_delay_alu instid0(VALU_DEP_4) | instskip(NEXT) | instid1(VALU_DEP_4)
	v_xor_b32_e32 v1, s13, v1
	v_xor_b32_e32 v2, vcc_lo, v4
	v_cmp_gt_i32_e32 vcc_lo, 0, v3
	v_not_b32_e32 v3, v5
	v_ashrrev_i32_e32 v4, 31, v6
	v_and_b32_e32 v0, v0, v1
	v_cmp_gt_i32_e64 s12, 0, v5
	v_and_b32_e32 v5, 0xff, v23
	v_ashrrev_i32_e32 v1, 31, v3
	v_xor_b32_e32 v3, vcc_lo, v4
	v_and_b32_e32 v0, v0, v2
	s_mov_b32 s13, s14
	v_lshlrev_b32_e32 v5, 2, v5
	v_xor_b32_e32 v1, s12, v1
	s_mov_b32 s12, s14
	s_delay_alu instid0(SALU_CYCLE_1) | instskip(SKIP_2) | instid1(VALU_DEP_3)
	v_dual_mov_b32 v3, s12 :: v_dual_and_b32 v0, v0, v3
	v_mov_b32_e32 v4, s13
	v_add_lshl_u32 v11, v5, v20, 2
	v_dual_mov_b32 v1, s14 :: v_dual_and_b32 v0, v0, v1
	v_mov_b32_e32 v2, s15
	ds_store_2addr_b64 v14, v[1:2], v[3:4] offset0:2 offset1:3
	ds_store_2addr_b64 v15, v[1:2], v[3:4] offset0:2 offset1:3
	v_mbcnt_lo_u32_b32 v10, v0, 0
	v_cmp_ne_u32_e64 s12, 0, v0
	s_waitcnt lgkmcnt(0)
	s_barrier
	buffer_gl0_inv
	v_cmp_eq_u32_e32 vcc_lo, 0, v10
	; wave barrier
	s_and_b32 s13, s12, vcc_lo
	s_delay_alu instid0(SALU_CYCLE_1)
	s_and_saveexec_b32 s12, s13
	s_cbranch_execz .LBB24_17
; %bb.16:
	v_bcnt_u32_b32 v0, v0, 0
	ds_store_b32 v11, v0 offset:16
.LBB24_17:
	s_or_b32 exec_lo, exec_lo, s12
	; wave barrier
	s_waitcnt lgkmcnt(0)
	s_barrier
	buffer_gl0_inv
	ds_load_2addr_b64 v[4:7], v14 offset0:2 offset1:3
	ds_load_2addr_b64 v[0:3], v15 offset0:2 offset1:3
	s_waitcnt lgkmcnt(1)
	v_add_nc_u32_e32 v12, v5, v4
	s_delay_alu instid0(VALU_DEP_1) | instskip(SKIP_1) | instid1(VALU_DEP_1)
	v_add3_u32 v12, v12, v6, v7
	s_waitcnt lgkmcnt(0)
	v_add3_u32 v12, v12, v0, v1
	s_delay_alu instid0(VALU_DEP_1) | instskip(NEXT) | instid1(VALU_DEP_1)
	v_add3_u32 v3, v12, v2, v3
	v_mov_b32_dpp v12, v3 row_shr:1 row_mask:0xf bank_mask:0xf
	s_delay_alu instid0(VALU_DEP_1) | instskip(NEXT) | instid1(VALU_DEP_1)
	v_cndmask_b32_e64 v12, v12, 0, s10
	v_add_nc_u32_e32 v3, v12, v3
	s_delay_alu instid0(VALU_DEP_1) | instskip(NEXT) | instid1(VALU_DEP_1)
	v_mov_b32_dpp v12, v3 row_shr:2 row_mask:0xf bank_mask:0xf
	v_cndmask_b32_e64 v12, 0, v12, s9
	s_delay_alu instid0(VALU_DEP_1) | instskip(NEXT) | instid1(VALU_DEP_1)
	v_add_nc_u32_e32 v3, v3, v12
	v_mov_b32_dpp v12, v3 row_shr:4 row_mask:0xf bank_mask:0xf
	s_delay_alu instid0(VALU_DEP_1) | instskip(NEXT) | instid1(VALU_DEP_1)
	v_cndmask_b32_e64 v12, 0, v12, s8
	v_add_nc_u32_e32 v3, v3, v12
	s_delay_alu instid0(VALU_DEP_1) | instskip(NEXT) | instid1(VALU_DEP_1)
	v_mov_b32_dpp v12, v3 row_shr:8 row_mask:0xf bank_mask:0xf
	v_cndmask_b32_e64 v12, 0, v12, s7
	s_delay_alu instid0(VALU_DEP_1) | instskip(SKIP_3) | instid1(VALU_DEP_1)
	v_add_nc_u32_e32 v3, v3, v12
	ds_swizzle_b32 v12, v3 offset:swizzle(BROADCAST,32,15)
	s_waitcnt lgkmcnt(0)
	v_cndmask_b32_e64 v12, v12, 0, s6
	v_add_nc_u32_e32 v3, v3, v12
	s_and_saveexec_b32 s12, s11
	s_cbranch_execz .LBB24_19
; %bb.18:
	ds_store_b32 v19, v3
.LBB24_19:
	s_or_b32 exec_lo, exec_lo, s12
	s_waitcnt lgkmcnt(0)
	s_barrier
	buffer_gl0_inv
	s_and_saveexec_b32 s12, s4
	s_cbranch_execz .LBB24_21
; %bb.20:
	ds_load_b32 v12, v16
	s_waitcnt lgkmcnt(0)
	v_mov_b32_dpp v13, v12 row_shr:1 row_mask:0xf bank_mask:0xf
	s_delay_alu instid0(VALU_DEP_1) | instskip(NEXT) | instid1(VALU_DEP_1)
	v_cndmask_b32_e64 v13, v13, 0, s5
	v_add_nc_u32_e32 v12, v13, v12
	s_delay_alu instid0(VALU_DEP_1) | instskip(NEXT) | instid1(VALU_DEP_1)
	v_mov_b32_dpp v13, v12 row_shr:2 row_mask:0xf bank_mask:0xf
	v_cndmask_b32_e64 v13, 0, v13, s3
	s_delay_alu instid0(VALU_DEP_1)
	v_add_nc_u32_e32 v12, v12, v13
	ds_store_b32 v16, v12
.LBB24_21:
	s_or_b32 exec_lo, exec_lo, s12
	v_mov_b32_e32 v12, 0
	s_waitcnt lgkmcnt(0)
	s_barrier
	buffer_gl0_inv
	s_and_saveexec_b32 s12, s2
	s_cbranch_execz .LBB24_23
; %bb.22:
	ds_load_b32 v12, v18
.LBB24_23:
	s_or_b32 exec_lo, exec_lo, s12
	s_mov_b32 s15, s14
	s_waitcnt lgkmcnt(0)
	v_add_nc_u32_e32 v3, v12, v3
	s_mov_b32 s13, s14
	ds_bpermute_b32 v3, v17, v3
	s_waitcnt lgkmcnt(0)
	v_cndmask_b32_e64 v3, v3, v12, s0
	s_delay_alu instid0(VALU_DEP_1) | instskip(NEXT) | instid1(VALU_DEP_1)
	v_cndmask_b32_e64 v3, v3, 0, s1
	v_add_nc_u32_e32 v4, v3, v4
	s_delay_alu instid0(VALU_DEP_1) | instskip(NEXT) | instid1(VALU_DEP_1)
	v_add_nc_u32_e32 v5, v4, v5
	v_add_nc_u32_e32 v6, v5, v6
	s_delay_alu instid0(VALU_DEP_1) | instskip(NEXT) | instid1(VALU_DEP_1)
	v_add_nc_u32_e32 v12, v6, v7
	;; [unrolled: 3-line block ×3, first 2 shown]
	v_add_nc_u32_e32 v1, v0, v2
	ds_store_2addr_b64 v14, v[3:4], v[5:6] offset0:2 offset1:3
	ds_store_2addr_b64 v15, v[12:13], v[0:1] offset0:2 offset1:3
	s_waitcnt lgkmcnt(0)
	s_barrier
	buffer_gl0_inv
	ds_load_b32 v0, v11 offset:16
	v_lshlrev_b32_e32 v1, 2, v10
	s_waitcnt lgkmcnt(0)
	s_barrier
	buffer_gl0_inv
	v_lshl_add_u32 v0, v0, 2, v1
	ds_store_b32 v0, v22
	s_waitcnt lgkmcnt(0)
	s_barrier
	buffer_gl0_inv
	ds_load_b32 v10, v21
	s_waitcnt lgkmcnt(0)
	s_barrier
	buffer_gl0_inv
	v_bfe_u32 v0, v10, 8, 1
	v_lshrrev_b32_e32 v1, 8, v10
	s_delay_alu instid0(VALU_DEP_2) | instskip(NEXT) | instid1(VALU_DEP_1)
	v_add_co_u32 v0, s12, v0, -1
	v_cndmask_b32_e64 v2, 0, 1, s12
	s_delay_alu instid0(VALU_DEP_3)
	v_lshlrev_b32_e32 v3, 30, v1
	v_lshlrev_b32_e32 v4, 29, v1
	;; [unrolled: 1-line block ×4, first 2 shown]
	v_cmp_ne_u32_e32 vcc_lo, 0, v2
	v_not_b32_e32 v2, v3
	v_cmp_gt_i32_e64 s12, 0, v3
	v_not_b32_e32 v3, v4
	v_lshlrev_b32_e32 v7, 26, v1
	v_xor_b32_e32 v0, vcc_lo, v0
	v_ashrrev_i32_e32 v2, 31, v2
	v_cmp_gt_i32_e32 vcc_lo, 0, v4
	v_not_b32_e32 v4, v5
	v_ashrrev_i32_e32 v3, 31, v3
	v_and_b32_e32 v0, exec_lo, v0
	v_xor_b32_e32 v2, s12, v2
	v_cmp_gt_i32_e64 s12, 0, v5
	v_not_b32_e32 v5, v6
	v_ashrrev_i32_e32 v4, 31, v4
	v_xor_b32_e32 v3, vcc_lo, v3
	v_and_b32_e32 v0, v0, v2
	v_lshlrev_b32_e32 v11, 25, v1
	v_cmp_gt_i32_e32 vcc_lo, 0, v6
	v_not_b32_e32 v2, v7
	v_ashrrev_i32_e32 v5, 31, v5
	v_xor_b32_e32 v4, s12, v4
	v_and_b32_e32 v0, v0, v3
	v_lshlrev_b32_e32 v1, 24, v1
	v_cmp_gt_i32_e64 s12, 0, v7
	v_not_b32_e32 v3, v11
	v_ashrrev_i32_e32 v2, 31, v2
	v_xor_b32_e32 v5, vcc_lo, v5
	v_and_b32_e32 v0, v0, v4
	v_cmp_gt_i32_e32 vcc_lo, 0, v11
	v_not_b32_e32 v4, v1
	v_ashrrev_i32_e32 v3, 31, v3
	v_xor_b32_e32 v2, s12, v2
	v_and_b32_e32 v0, v0, v5
	v_cmp_gt_i32_e64 s12, 0, v1
	v_ashrrev_i32_e32 v1, 31, v4
	v_xor_b32_e32 v3, vcc_lo, v3
	s_delay_alu instid0(VALU_DEP_4) | instskip(NEXT) | instid1(VALU_DEP_3)
	v_and_b32_e32 v0, v0, v2
	v_xor_b32_e32 v5, s12, v1
	s_mov_b32 s12, s14
	s_delay_alu instid0(VALU_DEP_2)
	v_dual_mov_b32 v1, s14 :: v_dual_and_b32 v0, v0, v3
	v_dual_mov_b32 v3, s12 :: v_dual_mov_b32 v2, s15
	v_mov_b32_e32 v4, s13
	ds_store_2addr_b64 v14, v[1:2], v[3:4] offset0:2 offset1:3
	ds_store_2addr_b64 v15, v[1:2], v[3:4] offset0:2 offset1:3
	v_and_b32_e32 v0, v0, v5
	v_lshrrev_b32_e32 v5, 6, v10
	s_waitcnt lgkmcnt(0)
	s_barrier
	buffer_gl0_inv
	v_mbcnt_lo_u32_b32 v11, v0, 0
	v_and_b32_e32 v1, 0x3fc, v5
	v_cmp_ne_u32_e64 s12, 0, v0
	; wave barrier
	s_delay_alu instid0(VALU_DEP_3) | instskip(NEXT) | instid1(VALU_DEP_3)
	v_cmp_eq_u32_e32 vcc_lo, 0, v11
	v_add_lshl_u32 v12, v1, v20, 2
	s_delay_alu instid0(VALU_DEP_3) | instskip(NEXT) | instid1(SALU_CYCLE_1)
	s_and_b32 s13, s12, vcc_lo
	s_and_saveexec_b32 s12, s13
	s_cbranch_execz .LBB24_25
; %bb.24:
	v_bcnt_u32_b32 v0, v0, 0
	ds_store_b32 v12, v0 offset:16
.LBB24_25:
	s_or_b32 exec_lo, exec_lo, s12
	; wave barrier
	s_waitcnt lgkmcnt(0)
	s_barrier
	buffer_gl0_inv
	ds_load_2addr_b64 v[4:7], v14 offset0:2 offset1:3
	ds_load_2addr_b64 v[0:3], v15 offset0:2 offset1:3
	s_waitcnt lgkmcnt(1)
	v_add_nc_u32_e32 v13, v5, v4
	s_delay_alu instid0(VALU_DEP_1) | instskip(SKIP_1) | instid1(VALU_DEP_1)
	v_add3_u32 v13, v13, v6, v7
	s_waitcnt lgkmcnt(0)
	v_add3_u32 v13, v13, v0, v1
	s_delay_alu instid0(VALU_DEP_1) | instskip(NEXT) | instid1(VALU_DEP_1)
	v_add3_u32 v3, v13, v2, v3
	v_mov_b32_dpp v13, v3 row_shr:1 row_mask:0xf bank_mask:0xf
	s_delay_alu instid0(VALU_DEP_1) | instskip(NEXT) | instid1(VALU_DEP_1)
	v_cndmask_b32_e64 v13, v13, 0, s10
	v_add_nc_u32_e32 v3, v13, v3
	s_delay_alu instid0(VALU_DEP_1) | instskip(NEXT) | instid1(VALU_DEP_1)
	v_mov_b32_dpp v13, v3 row_shr:2 row_mask:0xf bank_mask:0xf
	v_cndmask_b32_e64 v13, 0, v13, s9
	s_delay_alu instid0(VALU_DEP_1) | instskip(NEXT) | instid1(VALU_DEP_1)
	v_add_nc_u32_e32 v3, v3, v13
	v_mov_b32_dpp v13, v3 row_shr:4 row_mask:0xf bank_mask:0xf
	s_delay_alu instid0(VALU_DEP_1) | instskip(NEXT) | instid1(VALU_DEP_1)
	v_cndmask_b32_e64 v13, 0, v13, s8
	v_add_nc_u32_e32 v3, v3, v13
	s_delay_alu instid0(VALU_DEP_1) | instskip(NEXT) | instid1(VALU_DEP_1)
	v_mov_b32_dpp v13, v3 row_shr:8 row_mask:0xf bank_mask:0xf
	v_cndmask_b32_e64 v13, 0, v13, s7
	s_delay_alu instid0(VALU_DEP_1) | instskip(SKIP_3) | instid1(VALU_DEP_1)
	v_add_nc_u32_e32 v3, v3, v13
	ds_swizzle_b32 v13, v3 offset:swizzle(BROADCAST,32,15)
	s_waitcnt lgkmcnt(0)
	v_cndmask_b32_e64 v13, v13, 0, s6
	v_add_nc_u32_e32 v3, v3, v13
	s_and_saveexec_b32 s12, s11
	s_cbranch_execz .LBB24_27
; %bb.26:
	ds_store_b32 v19, v3
.LBB24_27:
	s_or_b32 exec_lo, exec_lo, s12
	s_waitcnt lgkmcnt(0)
	s_barrier
	buffer_gl0_inv
	s_and_saveexec_b32 s12, s4
	s_cbranch_execz .LBB24_29
; %bb.28:
	ds_load_b32 v13, v16
	s_waitcnt lgkmcnt(0)
	v_mov_b32_dpp v22, v13 row_shr:1 row_mask:0xf bank_mask:0xf
	s_delay_alu instid0(VALU_DEP_1) | instskip(NEXT) | instid1(VALU_DEP_1)
	v_cndmask_b32_e64 v22, v22, 0, s5
	v_add_nc_u32_e32 v13, v22, v13
	s_delay_alu instid0(VALU_DEP_1) | instskip(NEXT) | instid1(VALU_DEP_1)
	v_mov_b32_dpp v22, v13 row_shr:2 row_mask:0xf bank_mask:0xf
	v_cndmask_b32_e64 v22, 0, v22, s3
	s_delay_alu instid0(VALU_DEP_1)
	v_add_nc_u32_e32 v13, v13, v22
	ds_store_b32 v16, v13
.LBB24_29:
	s_or_b32 exec_lo, exec_lo, s12
	v_mov_b32_e32 v13, 0
	s_waitcnt lgkmcnt(0)
	s_barrier
	buffer_gl0_inv
	s_and_saveexec_b32 s12, s2
	s_cbranch_execz .LBB24_31
; %bb.30:
	ds_load_b32 v13, v18
.LBB24_31:
	s_or_b32 exec_lo, exec_lo, s12
	s_mov_b32 s15, s14
	s_waitcnt lgkmcnt(0)
	v_add_nc_u32_e32 v3, v13, v3
	s_mov_b32 s13, s14
	ds_bpermute_b32 v3, v17, v3
	s_waitcnt lgkmcnt(0)
	v_cndmask_b32_e64 v3, v3, v13, s0
	s_delay_alu instid0(VALU_DEP_1) | instskip(NEXT) | instid1(VALU_DEP_1)
	v_cndmask_b32_e64 v3, v3, 0, s1
	v_add_nc_u32_e32 v4, v3, v4
	s_delay_alu instid0(VALU_DEP_1) | instskip(NEXT) | instid1(VALU_DEP_1)
	v_add_nc_u32_e32 v5, v4, v5
	v_add_nc_u32_e32 v6, v5, v6
	s_delay_alu instid0(VALU_DEP_1) | instskip(NEXT) | instid1(VALU_DEP_1)
	v_add_nc_u32_e32 v22, v6, v7
	;; [unrolled: 3-line block ×3, first 2 shown]
	v_add_nc_u32_e32 v1, v0, v2
	ds_store_2addr_b64 v14, v[3:4], v[5:6] offset0:2 offset1:3
	ds_store_2addr_b64 v15, v[22:23], v[0:1] offset0:2 offset1:3
	s_waitcnt lgkmcnt(0)
	s_barrier
	buffer_gl0_inv
	ds_load_b32 v0, v12 offset:16
	v_lshlrev_b32_e32 v1, 2, v11
	s_waitcnt lgkmcnt(0)
	s_barrier
	buffer_gl0_inv
	v_lshl_add_u32 v0, v0, 2, v1
	ds_store_b32 v0, v10
	s_waitcnt lgkmcnt(0)
	s_barrier
	buffer_gl0_inv
	ds_load_b32 v10, v21
	s_waitcnt lgkmcnt(0)
	s_barrier
	buffer_gl0_inv
	v_bfe_u32 v0, v10, 16, 1
	v_lshrrev_b32_e32 v1, 16, v10
	s_delay_alu instid0(VALU_DEP_2) | instskip(NEXT) | instid1(VALU_DEP_1)
	v_add_co_u32 v0, s12, v0, -1
	v_cndmask_b32_e64 v2, 0, 1, s12
	s_delay_alu instid0(VALU_DEP_3)
	v_lshlrev_b32_e32 v3, 30, v1
	v_lshlrev_b32_e32 v4, 29, v1
	;; [unrolled: 1-line block ×4, first 2 shown]
	v_cmp_ne_u32_e32 vcc_lo, 0, v2
	v_not_b32_e32 v2, v3
	v_cmp_gt_i32_e64 s12, 0, v3
	v_not_b32_e32 v3, v4
	v_lshlrev_b32_e32 v7, 26, v1
	v_xor_b32_e32 v0, vcc_lo, v0
	v_ashrrev_i32_e32 v2, 31, v2
	v_cmp_gt_i32_e32 vcc_lo, 0, v4
	v_not_b32_e32 v4, v5
	v_ashrrev_i32_e32 v3, 31, v3
	v_and_b32_e32 v0, exec_lo, v0
	v_xor_b32_e32 v2, s12, v2
	v_cmp_gt_i32_e64 s12, 0, v5
	v_not_b32_e32 v5, v6
	v_ashrrev_i32_e32 v4, 31, v4
	v_xor_b32_e32 v3, vcc_lo, v3
	v_and_b32_e32 v0, v0, v2
	v_lshlrev_b32_e32 v11, 25, v1
	v_cmp_gt_i32_e32 vcc_lo, 0, v6
	v_not_b32_e32 v2, v7
	v_ashrrev_i32_e32 v5, 31, v5
	v_xor_b32_e32 v4, s12, v4
	v_and_b32_e32 v0, v0, v3
	v_lshlrev_b32_e32 v1, 24, v1
	v_cmp_gt_i32_e64 s12, 0, v7
	v_not_b32_e32 v3, v11
	v_ashrrev_i32_e32 v2, 31, v2
	v_xor_b32_e32 v5, vcc_lo, v5
	v_and_b32_e32 v0, v0, v4
	v_cmp_gt_i32_e32 vcc_lo, 0, v11
	v_not_b32_e32 v4, v1
	v_ashrrev_i32_e32 v3, 31, v3
	v_xor_b32_e32 v2, s12, v2
	v_and_b32_e32 v0, v0, v5
	v_cmp_gt_i32_e64 s12, 0, v1
	v_ashrrev_i32_e32 v1, 31, v4
	v_xor_b32_e32 v3, vcc_lo, v3
	s_delay_alu instid0(VALU_DEP_4) | instskip(NEXT) | instid1(VALU_DEP_3)
	v_and_b32_e32 v0, v0, v2
	v_xor_b32_e32 v5, s12, v1
	s_mov_b32 s12, s14
	s_delay_alu instid0(VALU_DEP_2)
	v_dual_mov_b32 v1, s14 :: v_dual_and_b32 v0, v0, v3
	v_dual_mov_b32 v3, s12 :: v_dual_mov_b32 v2, s15
	v_mov_b32_e32 v4, s13
	ds_store_2addr_b64 v14, v[1:2], v[3:4] offset0:2 offset1:3
	ds_store_2addr_b64 v15, v[1:2], v[3:4] offset0:2 offset1:3
	v_and_b32_e32 v0, v0, v5
	v_lshrrev_b32_e32 v5, 14, v10
	s_waitcnt lgkmcnt(0)
	s_barrier
	buffer_gl0_inv
	v_mbcnt_lo_u32_b32 v11, v0, 0
	v_and_b32_e32 v1, 0x3fc, v5
	v_cmp_ne_u32_e64 s12, 0, v0
	; wave barrier
	s_delay_alu instid0(VALU_DEP_3) | instskip(NEXT) | instid1(VALU_DEP_3)
	v_cmp_eq_u32_e32 vcc_lo, 0, v11
	v_add_lshl_u32 v12, v1, v20, 2
	s_delay_alu instid0(VALU_DEP_3) | instskip(NEXT) | instid1(SALU_CYCLE_1)
	s_and_b32 s13, s12, vcc_lo
	s_and_saveexec_b32 s12, s13
	s_cbranch_execz .LBB24_33
; %bb.32:
	v_bcnt_u32_b32 v0, v0, 0
	ds_store_b32 v12, v0 offset:16
.LBB24_33:
	s_or_b32 exec_lo, exec_lo, s12
	; wave barrier
	s_waitcnt lgkmcnt(0)
	s_barrier
	buffer_gl0_inv
	ds_load_2addr_b64 v[4:7], v14 offset0:2 offset1:3
	ds_load_2addr_b64 v[0:3], v15 offset0:2 offset1:3
	s_waitcnt lgkmcnt(1)
	v_add_nc_u32_e32 v13, v5, v4
	s_delay_alu instid0(VALU_DEP_1) | instskip(SKIP_1) | instid1(VALU_DEP_1)
	v_add3_u32 v13, v13, v6, v7
	s_waitcnt lgkmcnt(0)
	v_add3_u32 v13, v13, v0, v1
	s_delay_alu instid0(VALU_DEP_1) | instskip(NEXT) | instid1(VALU_DEP_1)
	v_add3_u32 v3, v13, v2, v3
	v_mov_b32_dpp v13, v3 row_shr:1 row_mask:0xf bank_mask:0xf
	s_delay_alu instid0(VALU_DEP_1) | instskip(NEXT) | instid1(VALU_DEP_1)
	v_cndmask_b32_e64 v13, v13, 0, s10
	v_add_nc_u32_e32 v3, v13, v3
	s_delay_alu instid0(VALU_DEP_1) | instskip(NEXT) | instid1(VALU_DEP_1)
	v_mov_b32_dpp v13, v3 row_shr:2 row_mask:0xf bank_mask:0xf
	v_cndmask_b32_e64 v13, 0, v13, s9
	s_delay_alu instid0(VALU_DEP_1) | instskip(NEXT) | instid1(VALU_DEP_1)
	v_add_nc_u32_e32 v3, v3, v13
	v_mov_b32_dpp v13, v3 row_shr:4 row_mask:0xf bank_mask:0xf
	s_delay_alu instid0(VALU_DEP_1) | instskip(NEXT) | instid1(VALU_DEP_1)
	v_cndmask_b32_e64 v13, 0, v13, s8
	v_add_nc_u32_e32 v3, v3, v13
	s_delay_alu instid0(VALU_DEP_1) | instskip(NEXT) | instid1(VALU_DEP_1)
	v_mov_b32_dpp v13, v3 row_shr:8 row_mask:0xf bank_mask:0xf
	v_cndmask_b32_e64 v13, 0, v13, s7
	s_delay_alu instid0(VALU_DEP_1) | instskip(SKIP_3) | instid1(VALU_DEP_1)
	v_add_nc_u32_e32 v3, v3, v13
	ds_swizzle_b32 v13, v3 offset:swizzle(BROADCAST,32,15)
	s_waitcnt lgkmcnt(0)
	v_cndmask_b32_e64 v13, v13, 0, s6
	v_add_nc_u32_e32 v3, v3, v13
	s_and_saveexec_b32 s12, s11
	s_cbranch_execz .LBB24_35
; %bb.34:
	ds_store_b32 v19, v3
.LBB24_35:
	s_or_b32 exec_lo, exec_lo, s12
	s_waitcnt lgkmcnt(0)
	s_barrier
	buffer_gl0_inv
	s_and_saveexec_b32 s12, s4
	s_cbranch_execz .LBB24_37
; %bb.36:
	ds_load_b32 v13, v16
	s_waitcnt lgkmcnt(0)
	v_mov_b32_dpp v22, v13 row_shr:1 row_mask:0xf bank_mask:0xf
	s_delay_alu instid0(VALU_DEP_1) | instskip(NEXT) | instid1(VALU_DEP_1)
	v_cndmask_b32_e64 v22, v22, 0, s5
	v_add_nc_u32_e32 v13, v22, v13
	s_delay_alu instid0(VALU_DEP_1) | instskip(NEXT) | instid1(VALU_DEP_1)
	v_mov_b32_dpp v22, v13 row_shr:2 row_mask:0xf bank_mask:0xf
	v_cndmask_b32_e64 v22, 0, v22, s3
	s_delay_alu instid0(VALU_DEP_1)
	v_add_nc_u32_e32 v13, v13, v22
	ds_store_b32 v16, v13
.LBB24_37:
	s_or_b32 exec_lo, exec_lo, s12
	v_mov_b32_e32 v13, 0
	s_waitcnt lgkmcnt(0)
	s_barrier
	buffer_gl0_inv
	s_and_saveexec_b32 s12, s2
	s_cbranch_execz .LBB24_39
; %bb.38:
	ds_load_b32 v13, v18
.LBB24_39:
	s_or_b32 exec_lo, exec_lo, s12
	s_mov_b32 s15, s14
	s_waitcnt lgkmcnt(0)
	v_add_nc_u32_e32 v3, v13, v3
	s_mov_b32 s13, s14
	ds_bpermute_b32 v3, v17, v3
	s_waitcnt lgkmcnt(0)
	v_cndmask_b32_e64 v3, v3, v13, s0
	s_delay_alu instid0(VALU_DEP_1) | instskip(NEXT) | instid1(VALU_DEP_1)
	v_cndmask_b32_e64 v3, v3, 0, s1
	v_add_nc_u32_e32 v4, v3, v4
	s_delay_alu instid0(VALU_DEP_1) | instskip(NEXT) | instid1(VALU_DEP_1)
	v_add_nc_u32_e32 v5, v4, v5
	v_add_nc_u32_e32 v6, v5, v6
	s_delay_alu instid0(VALU_DEP_1) | instskip(NEXT) | instid1(VALU_DEP_1)
	v_add_nc_u32_e32 v22, v6, v7
	;; [unrolled: 3-line block ×3, first 2 shown]
	v_add_nc_u32_e32 v1, v0, v2
	ds_store_2addr_b64 v14, v[3:4], v[5:6] offset0:2 offset1:3
	ds_store_2addr_b64 v15, v[22:23], v[0:1] offset0:2 offset1:3
	s_waitcnt lgkmcnt(0)
	s_barrier
	buffer_gl0_inv
	ds_load_b32 v0, v12 offset:16
	v_lshlrev_b32_e32 v1, 2, v11
	s_waitcnt lgkmcnt(0)
	s_barrier
	buffer_gl0_inv
	v_lshl_add_u32 v0, v0, 2, v1
	ds_store_b32 v0, v10
	s_waitcnt lgkmcnt(0)
	s_barrier
	buffer_gl0_inv
	ds_load_b32 v10, v21
	s_waitcnt lgkmcnt(0)
	s_barrier
	buffer_gl0_inv
	v_bfe_u32 v0, v10, 24, 1
	v_lshrrev_b32_e32 v5, 24, v10
	s_delay_alu instid0(VALU_DEP_2) | instskip(NEXT) | instid1(VALU_DEP_1)
	v_add_co_u32 v0, s12, v0, -1
	v_cndmask_b32_e64 v1, 0, 1, s12
	s_delay_alu instid0(VALU_DEP_3)
	v_lshlrev_b32_e32 v2, 30, v5
	v_lshlrev_b32_e32 v3, 29, v5
	v_lshlrev_b32_e32 v4, 28, v5
	v_lshlrev_b32_e32 v6, 27, v5
	v_cmp_ne_u32_e32 vcc_lo, 0, v1
	v_not_b32_e32 v1, v2
	v_cmp_gt_i32_e64 s12, 0, v2
	v_not_b32_e32 v2, v3
	v_lshlrev_b32_e32 v7, 26, v5
	v_xor_b32_e32 v0, vcc_lo, v0
	v_ashrrev_i32_e32 v1, 31, v1
	v_cmp_gt_i32_e32 vcc_lo, 0, v3
	v_not_b32_e32 v3, v4
	v_ashrrev_i32_e32 v2, 31, v2
	v_and_b32_e32 v0, exec_lo, v0
	v_xor_b32_e32 v1, s12, v1
	v_cmp_gt_i32_e64 s12, 0, v4
	v_not_b32_e32 v4, v6
	v_ashrrev_i32_e32 v3, 31, v3
	v_xor_b32_e32 v2, vcc_lo, v2
	v_and_b32_e32 v0, v0, v1
	v_lshlrev_b32_e32 v11, 25, v5
	v_cmp_gt_i32_e32 vcc_lo, 0, v6
	v_not_b32_e32 v1, v7
	v_ashrrev_i32_e32 v4, 31, v4
	v_xor_b32_e32 v3, s12, v3
	v_and_b32_e32 v0, v0, v2
	v_cmp_gt_i32_e64 s12, 0, v7
	v_not_b32_e32 v2, v11
	v_ashrrev_i32_e32 v1, 31, v1
	v_xor_b32_e32 v4, vcc_lo, v4
	v_and_b32_e32 v0, v0, v3
	v_not_b32_e32 v3, v10
	v_cmp_gt_i32_e32 vcc_lo, 0, v11
	v_ashrrev_i32_e32 v2, 31, v2
	v_xor_b32_e32 v1, s12, v1
	v_and_b32_e32 v0, v0, v4
	v_cmp_gt_i32_e64 s12, 0, v10
	v_ashrrev_i32_e32 v3, 31, v3
	v_xor_b32_e32 v2, vcc_lo, v2
	s_delay_alu instid0(VALU_DEP_4) | instskip(NEXT) | instid1(VALU_DEP_3)
	v_and_b32_e32 v0, v0, v1
	v_xor_b32_e32 v3, s12, v3
	s_mov_b32 s12, s14
	s_delay_alu instid0(VALU_DEP_2) | instskip(SKIP_1) | instid1(VALU_DEP_2)
	v_dual_mov_b32 v1, s14 :: v_dual_and_b32 v0, v0, v2
	v_mov_b32_e32 v2, s15
	v_dual_mov_b32 v3, s12 :: v_dual_and_b32 v0, v0, v3
	v_mov_b32_e32 v4, s13
	ds_store_2addr_b64 v14, v[1:2], v[3:4] offset0:2 offset1:3
	ds_store_2addr_b64 v15, v[1:2], v[3:4] offset0:2 offset1:3
	v_mbcnt_lo_u32_b32 v11, v0, 0
	v_lshlrev_b32_e32 v1, 2, v5
	v_cmp_ne_u32_e64 s12, 0, v0
	s_waitcnt lgkmcnt(0)
	s_barrier
	v_cmp_eq_u32_e32 vcc_lo, 0, v11
	v_add_lshl_u32 v12, v1, v20, 2
	buffer_gl0_inv
	; wave barrier
	s_and_b32 s13, s12, vcc_lo
	s_delay_alu instid0(SALU_CYCLE_1)
	s_and_saveexec_b32 s12, s13
	s_cbranch_execz .LBB24_41
; %bb.40:
	v_bcnt_u32_b32 v0, v0, 0
	ds_store_b32 v12, v0 offset:16
.LBB24_41:
	s_or_b32 exec_lo, exec_lo, s12
	; wave barrier
	s_waitcnt lgkmcnt(0)
	s_barrier
	buffer_gl0_inv
	ds_load_2addr_b64 v[4:7], v14 offset0:2 offset1:3
	ds_load_2addr_b64 v[0:3], v15 offset0:2 offset1:3
	s_waitcnt lgkmcnt(1)
	v_add_nc_u32_e32 v13, v5, v4
	s_delay_alu instid0(VALU_DEP_1) | instskip(SKIP_1) | instid1(VALU_DEP_1)
	v_add3_u32 v13, v13, v6, v7
	s_waitcnt lgkmcnt(0)
	v_add3_u32 v13, v13, v0, v1
	s_delay_alu instid0(VALU_DEP_1) | instskip(NEXT) | instid1(VALU_DEP_1)
	v_add3_u32 v3, v13, v2, v3
	v_mov_b32_dpp v13, v3 row_shr:1 row_mask:0xf bank_mask:0xf
	s_delay_alu instid0(VALU_DEP_1) | instskip(NEXT) | instid1(VALU_DEP_1)
	v_cndmask_b32_e64 v13, v13, 0, s10
	v_add_nc_u32_e32 v3, v13, v3
	s_delay_alu instid0(VALU_DEP_1) | instskip(NEXT) | instid1(VALU_DEP_1)
	v_mov_b32_dpp v13, v3 row_shr:2 row_mask:0xf bank_mask:0xf
	v_cndmask_b32_e64 v13, 0, v13, s9
	s_delay_alu instid0(VALU_DEP_1) | instskip(NEXT) | instid1(VALU_DEP_1)
	v_add_nc_u32_e32 v3, v3, v13
	v_mov_b32_dpp v13, v3 row_shr:4 row_mask:0xf bank_mask:0xf
	s_delay_alu instid0(VALU_DEP_1) | instskip(NEXT) | instid1(VALU_DEP_1)
	v_cndmask_b32_e64 v13, 0, v13, s8
	v_add_nc_u32_e32 v3, v3, v13
	s_delay_alu instid0(VALU_DEP_1) | instskip(NEXT) | instid1(VALU_DEP_1)
	v_mov_b32_dpp v13, v3 row_shr:8 row_mask:0xf bank_mask:0xf
	v_cndmask_b32_e64 v13, 0, v13, s7
	s_delay_alu instid0(VALU_DEP_1) | instskip(SKIP_3) | instid1(VALU_DEP_1)
	v_add_nc_u32_e32 v3, v3, v13
	ds_swizzle_b32 v13, v3 offset:swizzle(BROADCAST,32,15)
	s_waitcnt lgkmcnt(0)
	v_cndmask_b32_e64 v13, v13, 0, s6
	v_add_nc_u32_e32 v3, v3, v13
	s_and_saveexec_b32 s6, s11
	s_cbranch_execz .LBB24_43
; %bb.42:
	ds_store_b32 v19, v3
.LBB24_43:
	s_or_b32 exec_lo, exec_lo, s6
	s_waitcnt lgkmcnt(0)
	s_barrier
	buffer_gl0_inv
	s_and_saveexec_b32 s6, s4
	s_cbranch_execz .LBB24_45
; %bb.44:
	ds_load_b32 v13, v16
	s_waitcnt lgkmcnt(0)
	v_mov_b32_dpp v19, v13 row_shr:1 row_mask:0xf bank_mask:0xf
	s_delay_alu instid0(VALU_DEP_1) | instskip(NEXT) | instid1(VALU_DEP_1)
	v_cndmask_b32_e64 v19, v19, 0, s5
	v_add_nc_u32_e32 v13, v19, v13
	s_delay_alu instid0(VALU_DEP_1) | instskip(NEXT) | instid1(VALU_DEP_1)
	v_mov_b32_dpp v19, v13 row_shr:2 row_mask:0xf bank_mask:0xf
	v_cndmask_b32_e64 v19, 0, v19, s3
	s_delay_alu instid0(VALU_DEP_1)
	v_add_nc_u32_e32 v13, v13, v19
	ds_store_b32 v16, v13
.LBB24_45:
	s_or_b32 exec_lo, exec_lo, s6
	v_mov_b32_e32 v13, 0
	s_waitcnt lgkmcnt(0)
	s_barrier
	buffer_gl0_inv
	s_and_saveexec_b32 s3, s2
	s_cbranch_execz .LBB24_47
; %bb.46:
	ds_load_b32 v13, v18
.LBB24_47:
	s_or_b32 exec_lo, exec_lo, s3
	s_waitcnt lgkmcnt(0)
	v_add_nc_u32_e32 v3, v13, v3
	ds_bpermute_b32 v3, v17, v3
	s_waitcnt lgkmcnt(0)
	v_cndmask_b32_e64 v3, v3, v13, s0
	s_delay_alu instid0(VALU_DEP_1) | instskip(NEXT) | instid1(VALU_DEP_1)
	v_cndmask_b32_e64 v3, v3, 0, s1
	v_add_nc_u32_e32 v4, v3, v4
	s_delay_alu instid0(VALU_DEP_1) | instskip(NEXT) | instid1(VALU_DEP_1)
	v_add_nc_u32_e32 v5, v4, v5
	v_add_nc_u32_e32 v6, v5, v6
	s_delay_alu instid0(VALU_DEP_1) | instskip(NEXT) | instid1(VALU_DEP_1)
	v_add_nc_u32_e32 v17, v6, v7
	;; [unrolled: 3-line block ×3, first 2 shown]
	v_add_nc_u32_e32 v1, v0, v2
	ds_store_2addr_b64 v14, v[3:4], v[5:6] offset0:2 offset1:3
	ds_store_2addr_b64 v15, v[17:18], v[0:1] offset0:2 offset1:3
	s_waitcnt lgkmcnt(0)
	s_barrier
	buffer_gl0_inv
	ds_load_b32 v0, v12 offset:16
	v_lshlrev_b32_e32 v1, 2, v11
	s_waitcnt lgkmcnt(0)
	s_barrier
	buffer_gl0_inv
	v_lshl_add_u32 v0, v0, 2, v1
	ds_store_b32 v0, v10
	s_waitcnt lgkmcnt(0)
	s_barrier
.LBB24_48:
	buffer_gl0_inv
	ds_load_b32 v0, v16
	s_waitcnt lgkmcnt(0)
	v_xor_b32_e32 v0, 0x80000000, v0
	global_store_b32 v[8:9], v0, off
	s_nop 0
	s_sendmsg sendmsg(MSG_DEALLOC_VGPRS)
	s_endpgm
	.section	.rodata,"a",@progbits
	.p2align	6, 0x0
	.amdhsa_kernel _Z15sort_key_kernelILj128ELj1ELb0ELb0EiEvPT3_jj
		.amdhsa_group_segment_fixed_size 4112
		.amdhsa_private_segment_fixed_size 0
		.amdhsa_kernarg_size 272
		.amdhsa_user_sgpr_count 15
		.amdhsa_user_sgpr_dispatch_ptr 0
		.amdhsa_user_sgpr_queue_ptr 0
		.amdhsa_user_sgpr_kernarg_segment_ptr 1
		.amdhsa_user_sgpr_dispatch_id 0
		.amdhsa_user_sgpr_private_segment_size 0
		.amdhsa_wavefront_size32 1
		.amdhsa_uses_dynamic_stack 0
		.amdhsa_enable_private_segment 0
		.amdhsa_system_sgpr_workgroup_id_x 1
		.amdhsa_system_sgpr_workgroup_id_y 0
		.amdhsa_system_sgpr_workgroup_id_z 0
		.amdhsa_system_sgpr_workgroup_info 0
		.amdhsa_system_vgpr_workitem_id 2
		.amdhsa_next_free_vgpr 29
		.amdhsa_next_free_sgpr 20
		.amdhsa_reserve_vcc 1
		.amdhsa_float_round_mode_32 0
		.amdhsa_float_round_mode_16_64 0
		.amdhsa_float_denorm_mode_32 3
		.amdhsa_float_denorm_mode_16_64 3
		.amdhsa_dx10_clamp 1
		.amdhsa_ieee_mode 1
		.amdhsa_fp16_overflow 0
		.amdhsa_workgroup_processor_mode 1
		.amdhsa_memory_ordered 1
		.amdhsa_forward_progress 0
		.amdhsa_shared_vgpr_count 0
		.amdhsa_exception_fp_ieee_invalid_op 0
		.amdhsa_exception_fp_denorm_src 0
		.amdhsa_exception_fp_ieee_div_zero 0
		.amdhsa_exception_fp_ieee_overflow 0
		.amdhsa_exception_fp_ieee_underflow 0
		.amdhsa_exception_fp_ieee_inexact 0
		.amdhsa_exception_int_div_zero 0
	.end_amdhsa_kernel
	.section	.text._Z15sort_key_kernelILj128ELj1ELb0ELb0EiEvPT3_jj,"axG",@progbits,_Z15sort_key_kernelILj128ELj1ELb0ELb0EiEvPT3_jj,comdat
.Lfunc_end24:
	.size	_Z15sort_key_kernelILj128ELj1ELb0ELb0EiEvPT3_jj, .Lfunc_end24-_Z15sort_key_kernelILj128ELj1ELb0ELb0EiEvPT3_jj
                                        ; -- End function
	.section	.AMDGPU.csdata,"",@progbits
; Kernel info:
; codeLenInByte = 5140
; NumSgprs: 22
; NumVgprs: 29
; ScratchSize: 0
; MemoryBound: 0
; FloatMode: 240
; IeeeMode: 1
; LDSByteSize: 4112 bytes/workgroup (compile time only)
; SGPRBlocks: 2
; VGPRBlocks: 3
; NumSGPRsForWavesPerEU: 22
; NumVGPRsForWavesPerEU: 29
; Occupancy: 16
; WaveLimiterHint : 0
; COMPUTE_PGM_RSRC2:SCRATCH_EN: 0
; COMPUTE_PGM_RSRC2:USER_SGPR: 15
; COMPUTE_PGM_RSRC2:TRAP_HANDLER: 0
; COMPUTE_PGM_RSRC2:TGID_X_EN: 1
; COMPUTE_PGM_RSRC2:TGID_Y_EN: 0
; COMPUTE_PGM_RSRC2:TGID_Z_EN: 0
; COMPUTE_PGM_RSRC2:TIDIG_COMP_CNT: 2
	.section	.text._Z15sort_key_kernelILj64ELj1ELb0ELb0EjEvPT3_jj,"axG",@progbits,_Z15sort_key_kernelILj64ELj1ELb0ELb0EjEvPT3_jj,comdat
	.protected	_Z15sort_key_kernelILj64ELj1ELb0ELb0EjEvPT3_jj ; -- Begin function _Z15sort_key_kernelILj64ELj1ELb0ELb0EjEvPT3_jj
	.globl	_Z15sort_key_kernelILj64ELj1ELb0ELb0EjEvPT3_jj
	.p2align	8
	.type	_Z15sort_key_kernelILj64ELj1ELb0ELb0EjEvPT3_jj,@function
_Z15sort_key_kernelILj64ELj1ELb0ELb0EjEvPT3_jj: ; @_Z15sort_key_kernelILj64ELj1ELb0ELb0EjEvPT3_jj
; %bb.0:
	s_clause 0x1
	s_load_b128 s[16:19], s[0:1], 0x0
	s_load_b32 s4, s[0:1], 0x1c
	v_mbcnt_lo_u32_b32 v5, -1, 0
	v_and_b32_e32 v1, 0x3ff, v0
	s_lshl_b32 s12, s15, 6
	s_mov_b32 s13, 0
	v_bfe_u32 v2, v0, 10, 10
	s_lshl_b64 s[2:3], s[12:13], 2
	v_lshlrev_b32_e32 v4, 2, v1
	v_bfe_u32 v0, v0, 20, 10
	s_waitcnt lgkmcnt(0)
	s_add_u32 s0, s16, s2
	s_addc_u32 s1, s17, s3
	s_cmp_eq_u32 s18, 0
	global_load_b32 v22, v4, s[0:1]
	s_cselect_b32 s2, -1, 0
	s_cmp_eq_u32 s19, 32
	v_add_co_u32 v8, s0, s0, v4
	s_cselect_b32 s3, -1, 0
	s_lshr_b32 s5, s4, 16
	s_and_b32 s4, s4, 0xffff
	v_mad_u32_u24 v0, v0, s5, v2
	v_add_nc_u32_e32 v4, -1, v5
	v_add_co_ci_u32_e64 v9, null, s1, 0, s0
	s_and_b32 s11, s2, s3
	s_delay_alu instid0(VALU_DEP_3) | instskip(SKIP_4) | instid1(VALU_DEP_4)
	v_mad_u64_u32 v[2:3], null, v0, s4, v[1:2]
	v_and_b32_e32 v0, 15, v5
	v_cmp_gt_i32_e32 vcc_lo, 0, v4
	v_and_b32_e32 v3, 16, v5
	v_cmp_eq_u32_e64 s0, 0, v5
	v_cmp_eq_u32_e64 s4, 0, v0
	v_lshrrev_b32_e32 v20, 5, v2
	v_cmp_lt_u32_e64 s5, 1, v0
	v_cmp_lt_u32_e64 s10, 3, v0
	;; [unrolled: 1-line block ×3, first 2 shown]
	v_cndmask_b32_e32 v0, v4, v5, vcc_lo
	v_and_b32_e32 v2, 32, v1
	v_cmp_eq_u32_e64 s7, 0, v3
	v_lshrrev_b32_e32 v3, 3, v1
	v_lshlrev_b32_e32 v14, 5, v1
	v_cmp_gt_u32_e64 s3, 2, v1
	v_or_b32_e32 v6, 31, v2
	v_cmp_lt_u32_e64 s2, 31, v1
	v_lshlrev_b32_e32 v17, 2, v0
	v_and_b32_e32 v0, 1, v5
	v_and_b32_e32 v19, 4, v3
	v_cmp_eq_u32_e64 s8, v6, v1
	v_or_b32_e32 v2, v5, v2
	v_cmp_eq_u32_e64 s1, 0, v1
	v_mul_i32_i24_e32 v1, 0xffffffe4, v1
	v_or_b32_e32 v15, 8, v14
	v_cmp_eq_u32_e64 s6, 0, v0
	v_add_nc_u32_e32 v18, -4, v19
	v_lshlrev_b32_e32 v21, 2, v2
	v_add_nc_u32_e32 v16, v14, v1
	s_and_b32 vcc_lo, exec_lo, s11
	s_mov_b32 s11, -1
	s_cbranch_vccz .LBB25_3
; %bb.1:
	s_and_b32 vcc_lo, exec_lo, s11
	s_cbranch_vccnz .LBB25_16
.LBB25_2:
	s_waitcnt vmcnt(0)
	buffer_gl0_inv
	ds_load_b32 v0, v16
	s_waitcnt lgkmcnt(0)
	global_store_b32 v[8:9], v0, off
	s_nop 0
	s_sendmsg sendmsg(MSG_DEALLOC_VGPRS)
	s_endpgm
.LBB25_3:
	s_mov_b32 s12, s13
	s_mov_b32 s14, s13
	;; [unrolled: 1-line block ×3, first 2 shown]
	v_dual_mov_b32 v10, s12 :: v_dual_mov_b32 v11, s13
	v_dual_mov_b32 v12, s14 :: v_dual_mov_b32 v13, s15
	s_waitcnt vmcnt(0)
	v_mov_b32_e32 v1, v22
	s_sub_i32 s12, s19, s18
	s_branch .LBB25_5
.LBB25_4:                               ;   in Loop: Header=BB25_5 Depth=1
	s_barrier
	buffer_gl0_inv
	ds_store_b32 v0, v23
	s_waitcnt lgkmcnt(0)
	s_barrier
	buffer_gl0_inv
	ds_load_b32 v1, v21
	s_add_i32 s12, s12, -8
	s_waitcnt lgkmcnt(0)
	s_barrier
	buffer_gl0_inv
	s_cbranch_execz .LBB25_15
.LBB25_5:                               ; =>This Inner Loop Header: Depth=1
	s_delay_alu instid0(VALU_DEP_1)
	v_mov_b32_e32 v23, v1
	s_min_u32 s11, s12, 8
	ds_store_2addr_b64 v14, v[10:11], v[12:13] offset0:1 offset1:2
	ds_store_2addr_b64 v15, v[10:11], v[12:13] offset0:2 offset1:3
	s_waitcnt lgkmcnt(0)
	s_barrier
	v_lshrrev_b32_e32 v0, s18, v23
	buffer_gl0_inv
	; wave barrier
	v_bfe_u32 v1, v0, 0, s11
	s_delay_alu instid0(VALU_DEP_1)
	v_and_b32_e32 v0, 1, v1
	v_lshlrev_b32_e32 v2, 30, v1
	v_lshlrev_b32_e32 v3, 29, v1
	;; [unrolled: 1-line block ×4, first 2 shown]
	v_add_co_u32 v0, s11, v0, -1
	s_delay_alu instid0(VALU_DEP_1)
	v_cndmask_b32_e64 v5, 0, 1, s11
	v_not_b32_e32 v25, v2
	v_cmp_gt_i32_e64 s11, 0, v2
	v_not_b32_e32 v2, v3
	v_lshlrev_b32_e32 v7, 26, v1
	v_cmp_ne_u32_e32 vcc_lo, 0, v5
	v_ashrrev_i32_e32 v25, 31, v25
	v_lshlrev_b32_e32 v24, 25, v1
	v_ashrrev_i32_e32 v2, 31, v2
	v_lshlrev_b32_e32 v5, 24, v1
	v_xor_b32_e32 v0, vcc_lo, v0
	v_cmp_gt_i32_e32 vcc_lo, 0, v3
	v_not_b32_e32 v3, v4
	v_xor_b32_e32 v25, s11, v25
	v_cmp_gt_i32_e64 s11, 0, v4
	v_and_b32_e32 v0, exec_lo, v0
	v_not_b32_e32 v4, v6
	v_ashrrev_i32_e32 v3, 31, v3
	v_xor_b32_e32 v2, vcc_lo, v2
	v_cmp_gt_i32_e32 vcc_lo, 0, v6
	v_and_b32_e32 v0, v0, v25
	v_not_b32_e32 v6, v7
	v_ashrrev_i32_e32 v4, 31, v4
	v_xor_b32_e32 v3, s11, v3
	v_cmp_gt_i32_e64 s11, 0, v7
	v_and_b32_e32 v0, v0, v2
	v_not_b32_e32 v2, v24
	v_ashrrev_i32_e32 v6, 31, v6
	v_xor_b32_e32 v4, vcc_lo, v4
	v_cmp_gt_i32_e32 vcc_lo, 0, v24
	v_and_b32_e32 v0, v0, v3
	v_not_b32_e32 v3, v5
	v_ashrrev_i32_e32 v2, 31, v2
	v_xor_b32_e32 v6, s11, v6
	v_cmp_gt_i32_e64 s11, 0, v5
	v_and_b32_e32 v0, v0, v4
	v_ashrrev_i32_e32 v3, 31, v3
	v_xor_b32_e32 v2, vcc_lo, v2
	v_lshl_add_u32 v1, v1, 1, v20
	s_delay_alu instid0(VALU_DEP_4) | instskip(NEXT) | instid1(VALU_DEP_4)
	v_and_b32_e32 v0, v0, v6
	v_xor_b32_e32 v3, s11, v3
	s_delay_alu instid0(VALU_DEP_3) | instskip(NEXT) | instid1(VALU_DEP_3)
	v_lshl_add_u32 v25, v1, 2, 8
	v_and_b32_e32 v0, v0, v2
	s_delay_alu instid0(VALU_DEP_1) | instskip(NEXT) | instid1(VALU_DEP_1)
	v_and_b32_e32 v0, v0, v3
	v_mbcnt_lo_u32_b32 v24, v0, 0
	v_cmp_ne_u32_e64 s11, 0, v0
	s_delay_alu instid0(VALU_DEP_2) | instskip(NEXT) | instid1(VALU_DEP_2)
	v_cmp_eq_u32_e32 vcc_lo, 0, v24
	s_and_b32 s13, s11, vcc_lo
	s_delay_alu instid0(SALU_CYCLE_1)
	s_and_saveexec_b32 s11, s13
	s_cbranch_execz .LBB25_7
; %bb.6:                                ;   in Loop: Header=BB25_5 Depth=1
	v_bcnt_u32_b32 v0, v0, 0
	ds_store_b32 v25, v0
.LBB25_7:                               ;   in Loop: Header=BB25_5 Depth=1
	s_or_b32 exec_lo, exec_lo, s11
	; wave barrier
	s_waitcnt lgkmcnt(0)
	s_barrier
	buffer_gl0_inv
	ds_load_2addr_b64 v[4:7], v14 offset0:1 offset1:2
	ds_load_2addr_b64 v[0:3], v15 offset0:2 offset1:3
	s_waitcnt lgkmcnt(1)
	v_add_nc_u32_e32 v26, v5, v4
	s_delay_alu instid0(VALU_DEP_1) | instskip(SKIP_1) | instid1(VALU_DEP_1)
	v_add3_u32 v26, v26, v6, v7
	s_waitcnt lgkmcnt(0)
	v_add3_u32 v26, v26, v0, v1
	s_delay_alu instid0(VALU_DEP_1) | instskip(NEXT) | instid1(VALU_DEP_1)
	v_add3_u32 v3, v26, v2, v3
	v_mov_b32_dpp v26, v3 row_shr:1 row_mask:0xf bank_mask:0xf
	s_delay_alu instid0(VALU_DEP_1) | instskip(NEXT) | instid1(VALU_DEP_1)
	v_cndmask_b32_e64 v26, v26, 0, s4
	v_add_nc_u32_e32 v3, v26, v3
	s_delay_alu instid0(VALU_DEP_1) | instskip(NEXT) | instid1(VALU_DEP_1)
	v_mov_b32_dpp v26, v3 row_shr:2 row_mask:0xf bank_mask:0xf
	v_cndmask_b32_e64 v26, 0, v26, s5
	s_delay_alu instid0(VALU_DEP_1) | instskip(NEXT) | instid1(VALU_DEP_1)
	v_add_nc_u32_e32 v3, v3, v26
	v_mov_b32_dpp v26, v3 row_shr:4 row_mask:0xf bank_mask:0xf
	s_delay_alu instid0(VALU_DEP_1) | instskip(NEXT) | instid1(VALU_DEP_1)
	v_cndmask_b32_e64 v26, 0, v26, s10
	v_add_nc_u32_e32 v3, v3, v26
	s_delay_alu instid0(VALU_DEP_1) | instskip(NEXT) | instid1(VALU_DEP_1)
	v_mov_b32_dpp v26, v3 row_shr:8 row_mask:0xf bank_mask:0xf
	v_cndmask_b32_e64 v26, 0, v26, s9
	s_delay_alu instid0(VALU_DEP_1) | instskip(SKIP_3) | instid1(VALU_DEP_1)
	v_add_nc_u32_e32 v3, v3, v26
	ds_swizzle_b32 v26, v3 offset:swizzle(BROADCAST,32,15)
	s_waitcnt lgkmcnt(0)
	v_cndmask_b32_e64 v26, v26, 0, s7
	v_add_nc_u32_e32 v3, v3, v26
	s_and_saveexec_b32 s11, s8
	s_cbranch_execz .LBB25_9
; %bb.8:                                ;   in Loop: Header=BB25_5 Depth=1
	ds_store_b32 v19, v3
.LBB25_9:                               ;   in Loop: Header=BB25_5 Depth=1
	s_or_b32 exec_lo, exec_lo, s11
	s_waitcnt lgkmcnt(0)
	s_barrier
	buffer_gl0_inv
	s_and_saveexec_b32 s11, s3
	s_cbranch_execz .LBB25_11
; %bb.10:                               ;   in Loop: Header=BB25_5 Depth=1
	ds_load_b32 v26, v16
	s_waitcnt lgkmcnt(0)
	v_mov_b32_dpp v27, v26 row_shr:1 row_mask:0xf bank_mask:0xf
	s_delay_alu instid0(VALU_DEP_1) | instskip(NEXT) | instid1(VALU_DEP_1)
	v_cndmask_b32_e64 v27, v27, 0, s6
	v_add_nc_u32_e32 v26, v27, v26
	ds_store_b32 v16, v26
.LBB25_11:                              ;   in Loop: Header=BB25_5 Depth=1
	s_or_b32 exec_lo, exec_lo, s11
	v_mov_b32_e32 v26, 0
	s_waitcnt lgkmcnt(0)
	s_barrier
	buffer_gl0_inv
	s_and_saveexec_b32 s11, s2
	s_cbranch_execz .LBB25_13
; %bb.12:                               ;   in Loop: Header=BB25_5 Depth=1
	ds_load_b32 v26, v18
.LBB25_13:                              ;   in Loop: Header=BB25_5 Depth=1
	s_or_b32 exec_lo, exec_lo, s11
	s_waitcnt lgkmcnt(0)
	v_add_nc_u32_e32 v3, v26, v3
	s_add_i32 s18, s18, 8
	s_delay_alu instid0(SALU_CYCLE_1) | instskip(SKIP_3) | instid1(VALU_DEP_1)
	s_cmp_ge_u32 s18, s19
	ds_bpermute_b32 v3, v17, v3
	s_waitcnt lgkmcnt(0)
	v_cndmask_b32_e64 v3, v3, v26, s0
	v_cndmask_b32_e64 v3, v3, 0, s1
	s_delay_alu instid0(VALU_DEP_1) | instskip(NEXT) | instid1(VALU_DEP_1)
	v_add_nc_u32_e32 v4, v3, v4
	v_add_nc_u32_e32 v5, v4, v5
	s_delay_alu instid0(VALU_DEP_1) | instskip(NEXT) | instid1(VALU_DEP_1)
	v_add_nc_u32_e32 v6, v5, v6
	v_add_nc_u32_e32 v26, v6, v7
	;; [unrolled: 3-line block ×3, first 2 shown]
	s_delay_alu instid0(VALU_DEP_1)
	v_add_nc_u32_e32 v1, v0, v2
	ds_store_2addr_b64 v14, v[3:4], v[5:6] offset0:1 offset1:2
	ds_store_2addr_b64 v15, v[26:27], v[0:1] offset0:2 offset1:3
	s_waitcnt lgkmcnt(0)
	s_barrier
	buffer_gl0_inv
	ds_load_b32 v0, v25
	v_lshlrev_b32_e32 v1, 2, v24
	s_waitcnt lgkmcnt(0)
	s_delay_alu instid0(VALU_DEP_1)
	v_lshl_add_u32 v0, v0, 2, v1
	s_cbranch_scc0 .LBB25_4
; %bb.14:
                                        ; implicit-def: $vgpr1
                                        ; implicit-def: $sgpr12
.LBB25_15:
	s_barrier
	buffer_gl0_inv
	ds_store_b32 v0, v23
	s_waitcnt lgkmcnt(0)
	s_barrier
	s_branch .LBB25_2
.LBB25_16:
	s_waitcnt vmcnt(0)
	v_and_b32_e32 v0, 1, v22
	v_lshlrev_b32_e32 v1, 30, v22
	v_lshlrev_b32_e32 v2, 29, v22
	;; [unrolled: 1-line block ×4, first 2 shown]
	v_add_co_u32 v0, s11, v0, -1
	s_delay_alu instid0(VALU_DEP_1)
	v_cndmask_b32_e64 v3, 0, 1, s11
	v_not_b32_e32 v7, v1
	v_cmp_gt_i32_e64 s11, 0, v1
	v_not_b32_e32 v1, v2
	v_lshlrev_b32_e32 v6, 26, v22
	v_cmp_ne_u32_e32 vcc_lo, 0, v3
	v_ashrrev_i32_e32 v7, 31, v7
	v_lshlrev_b32_e32 v3, 25, v22
	v_ashrrev_i32_e32 v1, 31, v1
	v_cmp_gt_i32_e64 s12, 0, v5
	v_xor_b32_e32 v0, vcc_lo, v0
	v_cmp_gt_i32_e32 vcc_lo, 0, v2
	v_not_b32_e32 v2, v4
	v_xor_b32_e32 v7, s11, v7
	v_cmp_gt_i32_e64 s11, 0, v4
	v_and_b32_e32 v0, exec_lo, v0
	v_xor_b32_e32 v1, vcc_lo, v1
	v_ashrrev_i32_e32 v2, 31, v2
	v_not_b32_e32 v4, v5
	v_not_b32_e32 v5, v6
	v_and_b32_e32 v0, v0, v7
	v_cmp_gt_i32_e32 vcc_lo, 0, v6
	v_xor_b32_e32 v2, s11, v2
	v_not_b32_e32 v6, v3
	s_delay_alu instid0(VALU_DEP_4) | instskip(SKIP_3) | instid1(VALU_DEP_4)
	v_and_b32_e32 v0, v0, v1
	v_ashrrev_i32_e32 v1, 31, v4
	v_ashrrev_i32_e32 v4, 31, v5
	v_lshlrev_b32_e32 v5, 24, v22
	v_and_b32_e32 v0, v0, v2
	s_delay_alu instid0(VALU_DEP_4) | instskip(NEXT) | instid1(VALU_DEP_4)
	v_xor_b32_e32 v1, s12, v1
	v_xor_b32_e32 v2, vcc_lo, v4
	v_cmp_gt_i32_e32 vcc_lo, 0, v3
	v_not_b32_e32 v3, v5
	v_ashrrev_i32_e32 v4, 31, v6
	v_and_b32_e32 v0, v0, v1
	v_cmp_gt_i32_e64 s11, 0, v5
	v_and_b32_e32 v5, 0xff, v22
	v_ashrrev_i32_e32 v1, 31, v3
	v_xor_b32_e32 v3, vcc_lo, v4
	v_and_b32_e32 v0, v0, v2
	s_mov_b32 s12, 0
	v_lshlrev_b32_e32 v5, 1, v5
	v_xor_b32_e32 v1, s11, v1
	s_mov_b32 s14, s12
	v_and_b32_e32 v0, v0, v3
	s_mov_b32 s13, s12
	s_mov_b32 s15, s12
	s_delay_alu instid0(SALU_CYCLE_1) | instskip(NEXT) | instid1(VALU_DEP_2)
	v_dual_mov_b32 v3, s14 :: v_dual_mov_b32 v4, s15
	v_dual_mov_b32 v1, s12 :: v_dual_and_b32 v0, v0, v1
	v_mov_b32_e32 v2, s13
	v_add_lshl_u32 v11, v5, v20, 2
	ds_store_2addr_b64 v14, v[1:2], v[3:4] offset0:1 offset1:2
	ds_store_2addr_b64 v15, v[1:2], v[3:4] offset0:2 offset1:3
	v_mbcnt_lo_u32_b32 v10, v0, 0
	v_cmp_ne_u32_e64 s11, 0, v0
	s_waitcnt lgkmcnt(0)
	s_barrier
	buffer_gl0_inv
	v_cmp_eq_u32_e32 vcc_lo, 0, v10
	; wave barrier
	s_and_b32 s12, s11, vcc_lo
	s_delay_alu instid0(SALU_CYCLE_1)
	s_and_saveexec_b32 s11, s12
	s_cbranch_execz .LBB25_18
; %bb.17:
	v_bcnt_u32_b32 v0, v0, 0
	ds_store_b32 v11, v0 offset:8
.LBB25_18:
	s_or_b32 exec_lo, exec_lo, s11
	; wave barrier
	s_waitcnt lgkmcnt(0)
	s_barrier
	buffer_gl0_inv
	ds_load_2addr_b64 v[4:7], v14 offset0:1 offset1:2
	ds_load_2addr_b64 v[0:3], v15 offset0:2 offset1:3
	s_waitcnt lgkmcnt(1)
	v_add_nc_u32_e32 v12, v5, v4
	s_delay_alu instid0(VALU_DEP_1) | instskip(SKIP_1) | instid1(VALU_DEP_1)
	v_add3_u32 v12, v12, v6, v7
	s_waitcnt lgkmcnt(0)
	v_add3_u32 v12, v12, v0, v1
	s_delay_alu instid0(VALU_DEP_1) | instskip(NEXT) | instid1(VALU_DEP_1)
	v_add3_u32 v3, v12, v2, v3
	v_mov_b32_dpp v12, v3 row_shr:1 row_mask:0xf bank_mask:0xf
	s_delay_alu instid0(VALU_DEP_1) | instskip(NEXT) | instid1(VALU_DEP_1)
	v_cndmask_b32_e64 v12, v12, 0, s4
	v_add_nc_u32_e32 v3, v12, v3
	s_delay_alu instid0(VALU_DEP_1) | instskip(NEXT) | instid1(VALU_DEP_1)
	v_mov_b32_dpp v12, v3 row_shr:2 row_mask:0xf bank_mask:0xf
	v_cndmask_b32_e64 v12, 0, v12, s5
	s_delay_alu instid0(VALU_DEP_1) | instskip(NEXT) | instid1(VALU_DEP_1)
	v_add_nc_u32_e32 v3, v3, v12
	v_mov_b32_dpp v12, v3 row_shr:4 row_mask:0xf bank_mask:0xf
	s_delay_alu instid0(VALU_DEP_1) | instskip(NEXT) | instid1(VALU_DEP_1)
	v_cndmask_b32_e64 v12, 0, v12, s10
	v_add_nc_u32_e32 v3, v3, v12
	s_delay_alu instid0(VALU_DEP_1) | instskip(NEXT) | instid1(VALU_DEP_1)
	v_mov_b32_dpp v12, v3 row_shr:8 row_mask:0xf bank_mask:0xf
	v_cndmask_b32_e64 v12, 0, v12, s9
	s_delay_alu instid0(VALU_DEP_1) | instskip(SKIP_3) | instid1(VALU_DEP_1)
	v_add_nc_u32_e32 v3, v3, v12
	ds_swizzle_b32 v12, v3 offset:swizzle(BROADCAST,32,15)
	s_waitcnt lgkmcnt(0)
	v_cndmask_b32_e64 v12, v12, 0, s7
	v_add_nc_u32_e32 v3, v3, v12
	s_and_saveexec_b32 s11, s8
	s_cbranch_execz .LBB25_20
; %bb.19:
	ds_store_b32 v19, v3
.LBB25_20:
	s_or_b32 exec_lo, exec_lo, s11
	s_waitcnt lgkmcnt(0)
	s_barrier
	buffer_gl0_inv
	s_and_saveexec_b32 s11, s3
	s_cbranch_execz .LBB25_22
; %bb.21:
	ds_load_b32 v12, v16
	s_waitcnt lgkmcnt(0)
	v_mov_b32_dpp v13, v12 row_shr:1 row_mask:0xf bank_mask:0xf
	s_delay_alu instid0(VALU_DEP_1) | instskip(NEXT) | instid1(VALU_DEP_1)
	v_cndmask_b32_e64 v13, v13, 0, s6
	v_add_nc_u32_e32 v12, v13, v12
	ds_store_b32 v16, v12
.LBB25_22:
	s_or_b32 exec_lo, exec_lo, s11
	v_mov_b32_e32 v12, 0
	s_waitcnt lgkmcnt(0)
	s_barrier
	buffer_gl0_inv
	s_and_saveexec_b32 s11, s2
	s_cbranch_execz .LBB25_24
; %bb.23:
	ds_load_b32 v12, v18
.LBB25_24:
	s_or_b32 exec_lo, exec_lo, s11
	s_mov_b32 s12, 0
	s_delay_alu instid0(SALU_CYCLE_1)
	s_mov_b32 s13, s12
	s_waitcnt lgkmcnt(0)
	v_add_nc_u32_e32 v3, v12, v3
	s_mov_b32 s14, s12
	s_mov_b32 s15, s12
	ds_bpermute_b32 v3, v17, v3
	s_waitcnt lgkmcnt(0)
	v_cndmask_b32_e64 v3, v3, v12, s0
	s_delay_alu instid0(VALU_DEP_1) | instskip(NEXT) | instid1(VALU_DEP_1)
	v_cndmask_b32_e64 v3, v3, 0, s1
	v_add_nc_u32_e32 v4, v3, v4
	s_delay_alu instid0(VALU_DEP_1) | instskip(NEXT) | instid1(VALU_DEP_1)
	v_add_nc_u32_e32 v5, v4, v5
	v_add_nc_u32_e32 v6, v5, v6
	s_delay_alu instid0(VALU_DEP_1) | instskip(NEXT) | instid1(VALU_DEP_1)
	v_add_nc_u32_e32 v12, v6, v7
	;; [unrolled: 3-line block ×3, first 2 shown]
	v_add_nc_u32_e32 v1, v0, v2
	ds_store_2addr_b64 v14, v[3:4], v[5:6] offset0:1 offset1:2
	ds_store_2addr_b64 v15, v[12:13], v[0:1] offset0:2 offset1:3
	s_waitcnt lgkmcnt(0)
	s_barrier
	buffer_gl0_inv
	ds_load_b32 v0, v11 offset:8
	v_lshlrev_b32_e32 v1, 2, v10
	s_waitcnt lgkmcnt(0)
	s_barrier
	buffer_gl0_inv
	v_lshl_add_u32 v0, v0, 2, v1
	ds_store_b32 v0, v22
	s_waitcnt lgkmcnt(0)
	s_barrier
	buffer_gl0_inv
	ds_load_b32 v10, v21
	s_waitcnt lgkmcnt(0)
	s_barrier
	buffer_gl0_inv
	v_bfe_u32 v0, v10, 8, 1
	v_lshrrev_b32_e32 v1, 8, v10
	s_delay_alu instid0(VALU_DEP_2) | instskip(NEXT) | instid1(VALU_DEP_1)
	v_add_co_u32 v0, s11, v0, -1
	v_cndmask_b32_e64 v2, 0, 1, s11
	s_delay_alu instid0(VALU_DEP_3)
	v_lshlrev_b32_e32 v3, 30, v1
	v_lshlrev_b32_e32 v4, 29, v1
	;; [unrolled: 1-line block ×4, first 2 shown]
	v_cmp_ne_u32_e32 vcc_lo, 0, v2
	v_not_b32_e32 v2, v3
	v_cmp_gt_i32_e64 s11, 0, v3
	v_not_b32_e32 v3, v4
	v_lshlrev_b32_e32 v7, 26, v1
	v_xor_b32_e32 v0, vcc_lo, v0
	v_ashrrev_i32_e32 v2, 31, v2
	v_cmp_gt_i32_e32 vcc_lo, 0, v4
	v_not_b32_e32 v4, v5
	v_ashrrev_i32_e32 v3, 31, v3
	v_and_b32_e32 v0, exec_lo, v0
	v_xor_b32_e32 v2, s11, v2
	v_cmp_gt_i32_e64 s11, 0, v5
	v_not_b32_e32 v5, v6
	v_ashrrev_i32_e32 v4, 31, v4
	v_xor_b32_e32 v3, vcc_lo, v3
	v_and_b32_e32 v0, v0, v2
	v_lshlrev_b32_e32 v11, 25, v1
	v_cmp_gt_i32_e32 vcc_lo, 0, v6
	v_not_b32_e32 v2, v7
	v_ashrrev_i32_e32 v5, 31, v5
	v_xor_b32_e32 v4, s11, v4
	v_and_b32_e32 v0, v0, v3
	v_lshlrev_b32_e32 v1, 24, v1
	v_cmp_gt_i32_e64 s11, 0, v7
	v_not_b32_e32 v3, v11
	v_ashrrev_i32_e32 v2, 31, v2
	v_xor_b32_e32 v5, vcc_lo, v5
	v_and_b32_e32 v0, v0, v4
	v_cmp_gt_i32_e32 vcc_lo, 0, v11
	v_not_b32_e32 v4, v1
	v_ashrrev_i32_e32 v3, 31, v3
	v_xor_b32_e32 v2, s11, v2
	v_and_b32_e32 v0, v0, v5
	v_cmp_gt_i32_e64 s11, 0, v1
	v_ashrrev_i32_e32 v1, 31, v4
	v_xor_b32_e32 v3, vcc_lo, v3
	s_delay_alu instid0(VALU_DEP_4) | instskip(NEXT) | instid1(VALU_DEP_3)
	v_and_b32_e32 v0, v0, v2
	v_xor_b32_e32 v5, s11, v1
	v_dual_mov_b32 v1, s12 :: v_dual_mov_b32 v2, s13
	s_delay_alu instid0(VALU_DEP_3)
	v_dual_mov_b32 v3, s14 :: v_dual_and_b32 v0, v0, v3
	v_mov_b32_e32 v4, s15
	ds_store_2addr_b64 v14, v[1:2], v[3:4] offset0:1 offset1:2
	ds_store_2addr_b64 v15, v[1:2], v[3:4] offset0:2 offset1:3
	v_and_b32_e32 v0, v0, v5
	v_lshrrev_b32_e32 v5, 7, v10
	s_waitcnt lgkmcnt(0)
	s_barrier
	buffer_gl0_inv
	v_mbcnt_lo_u32_b32 v11, v0, 0
	v_and_b32_e32 v1, 0x1fe, v5
	v_cmp_ne_u32_e64 s11, 0, v0
	; wave barrier
	s_delay_alu instid0(VALU_DEP_3) | instskip(NEXT) | instid1(VALU_DEP_3)
	v_cmp_eq_u32_e32 vcc_lo, 0, v11
	v_add_lshl_u32 v12, v1, v20, 2
	s_delay_alu instid0(VALU_DEP_3) | instskip(NEXT) | instid1(SALU_CYCLE_1)
	s_and_b32 s12, s11, vcc_lo
	s_and_saveexec_b32 s11, s12
	s_cbranch_execz .LBB25_26
; %bb.25:
	v_bcnt_u32_b32 v0, v0, 0
	ds_store_b32 v12, v0 offset:8
.LBB25_26:
	s_or_b32 exec_lo, exec_lo, s11
	; wave barrier
	s_waitcnt lgkmcnt(0)
	s_barrier
	buffer_gl0_inv
	ds_load_2addr_b64 v[4:7], v14 offset0:1 offset1:2
	ds_load_2addr_b64 v[0:3], v15 offset0:2 offset1:3
	s_waitcnt lgkmcnt(1)
	v_add_nc_u32_e32 v13, v5, v4
	s_delay_alu instid0(VALU_DEP_1) | instskip(SKIP_1) | instid1(VALU_DEP_1)
	v_add3_u32 v13, v13, v6, v7
	s_waitcnt lgkmcnt(0)
	v_add3_u32 v13, v13, v0, v1
	s_delay_alu instid0(VALU_DEP_1) | instskip(NEXT) | instid1(VALU_DEP_1)
	v_add3_u32 v3, v13, v2, v3
	v_mov_b32_dpp v13, v3 row_shr:1 row_mask:0xf bank_mask:0xf
	s_delay_alu instid0(VALU_DEP_1) | instskip(NEXT) | instid1(VALU_DEP_1)
	v_cndmask_b32_e64 v13, v13, 0, s4
	v_add_nc_u32_e32 v3, v13, v3
	s_delay_alu instid0(VALU_DEP_1) | instskip(NEXT) | instid1(VALU_DEP_1)
	v_mov_b32_dpp v13, v3 row_shr:2 row_mask:0xf bank_mask:0xf
	v_cndmask_b32_e64 v13, 0, v13, s5
	s_delay_alu instid0(VALU_DEP_1) | instskip(NEXT) | instid1(VALU_DEP_1)
	v_add_nc_u32_e32 v3, v3, v13
	v_mov_b32_dpp v13, v3 row_shr:4 row_mask:0xf bank_mask:0xf
	s_delay_alu instid0(VALU_DEP_1) | instskip(NEXT) | instid1(VALU_DEP_1)
	v_cndmask_b32_e64 v13, 0, v13, s10
	v_add_nc_u32_e32 v3, v3, v13
	s_delay_alu instid0(VALU_DEP_1) | instskip(NEXT) | instid1(VALU_DEP_1)
	v_mov_b32_dpp v13, v3 row_shr:8 row_mask:0xf bank_mask:0xf
	v_cndmask_b32_e64 v13, 0, v13, s9
	s_delay_alu instid0(VALU_DEP_1) | instskip(SKIP_3) | instid1(VALU_DEP_1)
	v_add_nc_u32_e32 v3, v3, v13
	ds_swizzle_b32 v13, v3 offset:swizzle(BROADCAST,32,15)
	s_waitcnt lgkmcnt(0)
	v_cndmask_b32_e64 v13, v13, 0, s7
	v_add_nc_u32_e32 v3, v3, v13
	s_and_saveexec_b32 s11, s8
	s_cbranch_execz .LBB25_28
; %bb.27:
	ds_store_b32 v19, v3
.LBB25_28:
	s_or_b32 exec_lo, exec_lo, s11
	s_waitcnt lgkmcnt(0)
	s_barrier
	buffer_gl0_inv
	s_and_saveexec_b32 s11, s3
	s_cbranch_execz .LBB25_30
; %bb.29:
	ds_load_b32 v13, v16
	s_waitcnt lgkmcnt(0)
	v_mov_b32_dpp v22, v13 row_shr:1 row_mask:0xf bank_mask:0xf
	s_delay_alu instid0(VALU_DEP_1) | instskip(NEXT) | instid1(VALU_DEP_1)
	v_cndmask_b32_e64 v22, v22, 0, s6
	v_add_nc_u32_e32 v13, v22, v13
	ds_store_b32 v16, v13
.LBB25_30:
	s_or_b32 exec_lo, exec_lo, s11
	v_mov_b32_e32 v13, 0
	s_waitcnt lgkmcnt(0)
	s_barrier
	buffer_gl0_inv
	s_and_saveexec_b32 s11, s2
	s_cbranch_execz .LBB25_32
; %bb.31:
	ds_load_b32 v13, v18
.LBB25_32:
	s_or_b32 exec_lo, exec_lo, s11
	s_mov_b32 s12, 0
	s_delay_alu instid0(SALU_CYCLE_1)
	s_mov_b32 s13, s12
	s_waitcnt lgkmcnt(0)
	v_add_nc_u32_e32 v3, v13, v3
	s_mov_b32 s14, s12
	s_mov_b32 s15, s12
	ds_bpermute_b32 v3, v17, v3
	s_waitcnt lgkmcnt(0)
	v_cndmask_b32_e64 v3, v3, v13, s0
	s_delay_alu instid0(VALU_DEP_1) | instskip(NEXT) | instid1(VALU_DEP_1)
	v_cndmask_b32_e64 v3, v3, 0, s1
	v_add_nc_u32_e32 v4, v3, v4
	s_delay_alu instid0(VALU_DEP_1) | instskip(NEXT) | instid1(VALU_DEP_1)
	v_add_nc_u32_e32 v5, v4, v5
	v_add_nc_u32_e32 v6, v5, v6
	s_delay_alu instid0(VALU_DEP_1) | instskip(NEXT) | instid1(VALU_DEP_1)
	v_add_nc_u32_e32 v22, v6, v7
	;; [unrolled: 3-line block ×3, first 2 shown]
	v_add_nc_u32_e32 v1, v0, v2
	ds_store_2addr_b64 v14, v[3:4], v[5:6] offset0:1 offset1:2
	ds_store_2addr_b64 v15, v[22:23], v[0:1] offset0:2 offset1:3
	s_waitcnt lgkmcnt(0)
	s_barrier
	buffer_gl0_inv
	ds_load_b32 v0, v12 offset:8
	v_lshlrev_b32_e32 v1, 2, v11
	s_waitcnt lgkmcnt(0)
	s_barrier
	buffer_gl0_inv
	v_lshl_add_u32 v0, v0, 2, v1
	ds_store_b32 v0, v10
	s_waitcnt lgkmcnt(0)
	s_barrier
	buffer_gl0_inv
	ds_load_b32 v10, v21
	s_waitcnt lgkmcnt(0)
	s_barrier
	buffer_gl0_inv
	v_bfe_u32 v0, v10, 16, 1
	v_lshrrev_b32_e32 v1, 16, v10
	s_delay_alu instid0(VALU_DEP_2) | instskip(NEXT) | instid1(VALU_DEP_1)
	v_add_co_u32 v0, s11, v0, -1
	v_cndmask_b32_e64 v2, 0, 1, s11
	s_delay_alu instid0(VALU_DEP_3)
	v_lshlrev_b32_e32 v3, 30, v1
	v_lshlrev_b32_e32 v4, 29, v1
	v_lshlrev_b32_e32 v5, 28, v1
	v_lshlrev_b32_e32 v6, 27, v1
	v_cmp_ne_u32_e32 vcc_lo, 0, v2
	v_not_b32_e32 v2, v3
	v_cmp_gt_i32_e64 s11, 0, v3
	v_not_b32_e32 v3, v4
	v_lshlrev_b32_e32 v7, 26, v1
	v_xor_b32_e32 v0, vcc_lo, v0
	v_ashrrev_i32_e32 v2, 31, v2
	v_cmp_gt_i32_e32 vcc_lo, 0, v4
	v_not_b32_e32 v4, v5
	v_ashrrev_i32_e32 v3, 31, v3
	v_and_b32_e32 v0, exec_lo, v0
	v_xor_b32_e32 v2, s11, v2
	v_cmp_gt_i32_e64 s11, 0, v5
	v_not_b32_e32 v5, v6
	v_ashrrev_i32_e32 v4, 31, v4
	v_xor_b32_e32 v3, vcc_lo, v3
	v_and_b32_e32 v0, v0, v2
	v_lshlrev_b32_e32 v11, 25, v1
	v_cmp_gt_i32_e32 vcc_lo, 0, v6
	v_not_b32_e32 v2, v7
	v_ashrrev_i32_e32 v5, 31, v5
	v_xor_b32_e32 v4, s11, v4
	v_and_b32_e32 v0, v0, v3
	v_lshlrev_b32_e32 v1, 24, v1
	v_cmp_gt_i32_e64 s11, 0, v7
	v_not_b32_e32 v3, v11
	v_ashrrev_i32_e32 v2, 31, v2
	v_xor_b32_e32 v5, vcc_lo, v5
	v_and_b32_e32 v0, v0, v4
	v_cmp_gt_i32_e32 vcc_lo, 0, v11
	v_not_b32_e32 v4, v1
	v_ashrrev_i32_e32 v3, 31, v3
	v_xor_b32_e32 v2, s11, v2
	v_and_b32_e32 v0, v0, v5
	v_cmp_gt_i32_e64 s11, 0, v1
	v_ashrrev_i32_e32 v1, 31, v4
	v_xor_b32_e32 v3, vcc_lo, v3
	s_delay_alu instid0(VALU_DEP_4) | instskip(NEXT) | instid1(VALU_DEP_3)
	v_and_b32_e32 v0, v0, v2
	v_xor_b32_e32 v5, s11, v1
	v_dual_mov_b32 v1, s12 :: v_dual_mov_b32 v2, s13
	s_delay_alu instid0(VALU_DEP_3)
	v_dual_mov_b32 v3, s14 :: v_dual_and_b32 v0, v0, v3
	v_mov_b32_e32 v4, s15
	ds_store_2addr_b64 v14, v[1:2], v[3:4] offset0:1 offset1:2
	ds_store_2addr_b64 v15, v[1:2], v[3:4] offset0:2 offset1:3
	v_and_b32_e32 v0, v0, v5
	v_lshrrev_b32_e32 v5, 15, v10
	s_waitcnt lgkmcnt(0)
	s_barrier
	buffer_gl0_inv
	v_mbcnt_lo_u32_b32 v11, v0, 0
	v_and_b32_e32 v1, 0x1fe, v5
	v_cmp_ne_u32_e64 s11, 0, v0
	; wave barrier
	s_delay_alu instid0(VALU_DEP_3) | instskip(NEXT) | instid1(VALU_DEP_3)
	v_cmp_eq_u32_e32 vcc_lo, 0, v11
	v_add_lshl_u32 v12, v1, v20, 2
	s_delay_alu instid0(VALU_DEP_3) | instskip(NEXT) | instid1(SALU_CYCLE_1)
	s_and_b32 s12, s11, vcc_lo
	s_and_saveexec_b32 s11, s12
	s_cbranch_execz .LBB25_34
; %bb.33:
	v_bcnt_u32_b32 v0, v0, 0
	ds_store_b32 v12, v0 offset:8
.LBB25_34:
	s_or_b32 exec_lo, exec_lo, s11
	; wave barrier
	s_waitcnt lgkmcnt(0)
	s_barrier
	buffer_gl0_inv
	ds_load_2addr_b64 v[4:7], v14 offset0:1 offset1:2
	ds_load_2addr_b64 v[0:3], v15 offset0:2 offset1:3
	s_waitcnt lgkmcnt(1)
	v_add_nc_u32_e32 v13, v5, v4
	s_delay_alu instid0(VALU_DEP_1) | instskip(SKIP_1) | instid1(VALU_DEP_1)
	v_add3_u32 v13, v13, v6, v7
	s_waitcnt lgkmcnt(0)
	v_add3_u32 v13, v13, v0, v1
	s_delay_alu instid0(VALU_DEP_1) | instskip(NEXT) | instid1(VALU_DEP_1)
	v_add3_u32 v3, v13, v2, v3
	v_mov_b32_dpp v13, v3 row_shr:1 row_mask:0xf bank_mask:0xf
	s_delay_alu instid0(VALU_DEP_1) | instskip(NEXT) | instid1(VALU_DEP_1)
	v_cndmask_b32_e64 v13, v13, 0, s4
	v_add_nc_u32_e32 v3, v13, v3
	s_delay_alu instid0(VALU_DEP_1) | instskip(NEXT) | instid1(VALU_DEP_1)
	v_mov_b32_dpp v13, v3 row_shr:2 row_mask:0xf bank_mask:0xf
	v_cndmask_b32_e64 v13, 0, v13, s5
	s_delay_alu instid0(VALU_DEP_1) | instskip(NEXT) | instid1(VALU_DEP_1)
	v_add_nc_u32_e32 v3, v3, v13
	v_mov_b32_dpp v13, v3 row_shr:4 row_mask:0xf bank_mask:0xf
	s_delay_alu instid0(VALU_DEP_1) | instskip(NEXT) | instid1(VALU_DEP_1)
	v_cndmask_b32_e64 v13, 0, v13, s10
	v_add_nc_u32_e32 v3, v3, v13
	s_delay_alu instid0(VALU_DEP_1) | instskip(NEXT) | instid1(VALU_DEP_1)
	v_mov_b32_dpp v13, v3 row_shr:8 row_mask:0xf bank_mask:0xf
	v_cndmask_b32_e64 v13, 0, v13, s9
	s_delay_alu instid0(VALU_DEP_1) | instskip(SKIP_3) | instid1(VALU_DEP_1)
	v_add_nc_u32_e32 v3, v3, v13
	ds_swizzle_b32 v13, v3 offset:swizzle(BROADCAST,32,15)
	s_waitcnt lgkmcnt(0)
	v_cndmask_b32_e64 v13, v13, 0, s7
	v_add_nc_u32_e32 v3, v3, v13
	s_and_saveexec_b32 s11, s8
	s_cbranch_execz .LBB25_36
; %bb.35:
	ds_store_b32 v19, v3
.LBB25_36:
	s_or_b32 exec_lo, exec_lo, s11
	s_waitcnt lgkmcnt(0)
	s_barrier
	buffer_gl0_inv
	s_and_saveexec_b32 s11, s3
	s_cbranch_execz .LBB25_38
; %bb.37:
	ds_load_b32 v13, v16
	s_waitcnt lgkmcnt(0)
	v_mov_b32_dpp v22, v13 row_shr:1 row_mask:0xf bank_mask:0xf
	s_delay_alu instid0(VALU_DEP_1) | instskip(NEXT) | instid1(VALU_DEP_1)
	v_cndmask_b32_e64 v22, v22, 0, s6
	v_add_nc_u32_e32 v13, v22, v13
	ds_store_b32 v16, v13
.LBB25_38:
	s_or_b32 exec_lo, exec_lo, s11
	v_mov_b32_e32 v13, 0
	s_waitcnt lgkmcnt(0)
	s_barrier
	buffer_gl0_inv
	s_and_saveexec_b32 s11, s2
	s_cbranch_execz .LBB25_40
; %bb.39:
	ds_load_b32 v13, v18
.LBB25_40:
	s_or_b32 exec_lo, exec_lo, s11
	s_mov_b32 s12, 0
	s_delay_alu instid0(SALU_CYCLE_1)
	s_mov_b32 s13, s12
	s_waitcnt lgkmcnt(0)
	v_add_nc_u32_e32 v3, v13, v3
	s_mov_b32 s14, s12
	s_mov_b32 s15, s12
	ds_bpermute_b32 v3, v17, v3
	s_waitcnt lgkmcnt(0)
	v_cndmask_b32_e64 v3, v3, v13, s0
	s_delay_alu instid0(VALU_DEP_1) | instskip(NEXT) | instid1(VALU_DEP_1)
	v_cndmask_b32_e64 v3, v3, 0, s1
	v_add_nc_u32_e32 v4, v3, v4
	s_delay_alu instid0(VALU_DEP_1) | instskip(NEXT) | instid1(VALU_DEP_1)
	v_add_nc_u32_e32 v5, v4, v5
	v_add_nc_u32_e32 v6, v5, v6
	s_delay_alu instid0(VALU_DEP_1) | instskip(NEXT) | instid1(VALU_DEP_1)
	v_add_nc_u32_e32 v22, v6, v7
	;; [unrolled: 3-line block ×3, first 2 shown]
	v_add_nc_u32_e32 v1, v0, v2
	ds_store_2addr_b64 v14, v[3:4], v[5:6] offset0:1 offset1:2
	ds_store_2addr_b64 v15, v[22:23], v[0:1] offset0:2 offset1:3
	s_waitcnt lgkmcnt(0)
	s_barrier
	buffer_gl0_inv
	ds_load_b32 v0, v12 offset:8
	v_lshlrev_b32_e32 v1, 2, v11
	s_waitcnt lgkmcnt(0)
	s_barrier
	buffer_gl0_inv
	v_lshl_add_u32 v0, v0, 2, v1
	ds_store_b32 v0, v10
	s_waitcnt lgkmcnt(0)
	s_barrier
	buffer_gl0_inv
	ds_load_b32 v10, v21
	s_waitcnt lgkmcnt(0)
	s_barrier
	buffer_gl0_inv
	v_bfe_u32 v0, v10, 24, 1
	v_lshrrev_b32_e32 v5, 24, v10
	s_delay_alu instid0(VALU_DEP_2) | instskip(NEXT) | instid1(VALU_DEP_1)
	v_add_co_u32 v0, s11, v0, -1
	v_cndmask_b32_e64 v1, 0, 1, s11
	s_delay_alu instid0(VALU_DEP_3)
	v_lshlrev_b32_e32 v2, 30, v5
	v_lshlrev_b32_e32 v3, 29, v5
	;; [unrolled: 1-line block ×4, first 2 shown]
	v_cmp_ne_u32_e32 vcc_lo, 0, v1
	v_not_b32_e32 v1, v2
	v_cmp_gt_i32_e64 s11, 0, v2
	v_not_b32_e32 v2, v3
	v_lshlrev_b32_e32 v7, 26, v5
	v_xor_b32_e32 v0, vcc_lo, v0
	v_ashrrev_i32_e32 v1, 31, v1
	v_cmp_gt_i32_e32 vcc_lo, 0, v3
	v_not_b32_e32 v3, v4
	v_ashrrev_i32_e32 v2, 31, v2
	v_and_b32_e32 v0, exec_lo, v0
	v_xor_b32_e32 v1, s11, v1
	v_cmp_gt_i32_e64 s11, 0, v4
	v_not_b32_e32 v4, v6
	v_ashrrev_i32_e32 v3, 31, v3
	v_xor_b32_e32 v2, vcc_lo, v2
	v_and_b32_e32 v0, v0, v1
	v_lshlrev_b32_e32 v11, 25, v5
	v_cmp_gt_i32_e32 vcc_lo, 0, v6
	v_not_b32_e32 v1, v7
	v_ashrrev_i32_e32 v4, 31, v4
	v_xor_b32_e32 v3, s11, v3
	v_and_b32_e32 v0, v0, v2
	v_cmp_gt_i32_e64 s11, 0, v7
	v_not_b32_e32 v2, v11
	v_ashrrev_i32_e32 v1, 31, v1
	v_xor_b32_e32 v4, vcc_lo, v4
	v_and_b32_e32 v0, v0, v3
	v_not_b32_e32 v3, v10
	v_cmp_gt_i32_e32 vcc_lo, 0, v11
	v_ashrrev_i32_e32 v2, 31, v2
	v_xor_b32_e32 v1, s11, v1
	v_and_b32_e32 v0, v0, v4
	v_cmp_gt_i32_e64 s11, 0, v10
	v_ashrrev_i32_e32 v3, 31, v3
	v_xor_b32_e32 v2, vcc_lo, v2
	s_delay_alu instid0(VALU_DEP_4) | instskip(NEXT) | instid1(VALU_DEP_3)
	v_and_b32_e32 v0, v0, v1
	v_xor_b32_e32 v3, s11, v3
	s_delay_alu instid0(VALU_DEP_2) | instskip(SKIP_1) | instid1(VALU_DEP_2)
	v_dual_mov_b32 v1, s12 :: v_dual_and_b32 v0, v0, v2
	v_mov_b32_e32 v2, s13
	v_dual_mov_b32 v3, s14 :: v_dual_and_b32 v0, v0, v3
	v_mov_b32_e32 v4, s15
	ds_store_2addr_b64 v14, v[1:2], v[3:4] offset0:1 offset1:2
	ds_store_2addr_b64 v15, v[1:2], v[3:4] offset0:2 offset1:3
	v_mbcnt_lo_u32_b32 v11, v0, 0
	v_lshlrev_b32_e32 v1, 1, v5
	v_cmp_ne_u32_e64 s11, 0, v0
	s_waitcnt lgkmcnt(0)
	s_barrier
	v_cmp_eq_u32_e32 vcc_lo, 0, v11
	v_add_lshl_u32 v12, v1, v20, 2
	buffer_gl0_inv
	; wave barrier
	s_and_b32 s12, s11, vcc_lo
	s_delay_alu instid0(SALU_CYCLE_1)
	s_and_saveexec_b32 s11, s12
	s_cbranch_execz .LBB25_42
; %bb.41:
	v_bcnt_u32_b32 v0, v0, 0
	ds_store_b32 v12, v0 offset:8
.LBB25_42:
	s_or_b32 exec_lo, exec_lo, s11
	; wave barrier
	s_waitcnt lgkmcnt(0)
	s_barrier
	buffer_gl0_inv
	ds_load_2addr_b64 v[4:7], v14 offset0:1 offset1:2
	ds_load_2addr_b64 v[0:3], v15 offset0:2 offset1:3
	s_waitcnt lgkmcnt(1)
	v_add_nc_u32_e32 v13, v5, v4
	s_delay_alu instid0(VALU_DEP_1) | instskip(SKIP_1) | instid1(VALU_DEP_1)
	v_add3_u32 v13, v13, v6, v7
	s_waitcnt lgkmcnt(0)
	v_add3_u32 v13, v13, v0, v1
	s_delay_alu instid0(VALU_DEP_1) | instskip(NEXT) | instid1(VALU_DEP_1)
	v_add3_u32 v3, v13, v2, v3
	v_mov_b32_dpp v13, v3 row_shr:1 row_mask:0xf bank_mask:0xf
	s_delay_alu instid0(VALU_DEP_1) | instskip(NEXT) | instid1(VALU_DEP_1)
	v_cndmask_b32_e64 v13, v13, 0, s4
	v_add_nc_u32_e32 v3, v13, v3
	s_delay_alu instid0(VALU_DEP_1) | instskip(NEXT) | instid1(VALU_DEP_1)
	v_mov_b32_dpp v13, v3 row_shr:2 row_mask:0xf bank_mask:0xf
	v_cndmask_b32_e64 v13, 0, v13, s5
	s_delay_alu instid0(VALU_DEP_1) | instskip(NEXT) | instid1(VALU_DEP_1)
	v_add_nc_u32_e32 v3, v3, v13
	v_mov_b32_dpp v13, v3 row_shr:4 row_mask:0xf bank_mask:0xf
	s_delay_alu instid0(VALU_DEP_1) | instskip(NEXT) | instid1(VALU_DEP_1)
	v_cndmask_b32_e64 v13, 0, v13, s10
	v_add_nc_u32_e32 v3, v3, v13
	s_delay_alu instid0(VALU_DEP_1) | instskip(NEXT) | instid1(VALU_DEP_1)
	v_mov_b32_dpp v13, v3 row_shr:8 row_mask:0xf bank_mask:0xf
	v_cndmask_b32_e64 v13, 0, v13, s9
	s_delay_alu instid0(VALU_DEP_1) | instskip(SKIP_3) | instid1(VALU_DEP_1)
	v_add_nc_u32_e32 v3, v3, v13
	ds_swizzle_b32 v13, v3 offset:swizzle(BROADCAST,32,15)
	s_waitcnt lgkmcnt(0)
	v_cndmask_b32_e64 v13, v13, 0, s7
	v_add_nc_u32_e32 v3, v3, v13
	s_and_saveexec_b32 s4, s8
	s_cbranch_execz .LBB25_44
; %bb.43:
	ds_store_b32 v19, v3
.LBB25_44:
	s_or_b32 exec_lo, exec_lo, s4
	s_waitcnt lgkmcnt(0)
	s_barrier
	buffer_gl0_inv
	s_and_saveexec_b32 s4, s3
	s_cbranch_execz .LBB25_46
; %bb.45:
	ds_load_b32 v13, v16
	s_waitcnt lgkmcnt(0)
	v_mov_b32_dpp v19, v13 row_shr:1 row_mask:0xf bank_mask:0xf
	s_delay_alu instid0(VALU_DEP_1) | instskip(NEXT) | instid1(VALU_DEP_1)
	v_cndmask_b32_e64 v19, v19, 0, s6
	v_add_nc_u32_e32 v13, v19, v13
	ds_store_b32 v16, v13
.LBB25_46:
	s_or_b32 exec_lo, exec_lo, s4
	v_mov_b32_e32 v13, 0
	s_waitcnt lgkmcnt(0)
	s_barrier
	buffer_gl0_inv
	s_and_saveexec_b32 s3, s2
	s_cbranch_execz .LBB25_48
; %bb.47:
	ds_load_b32 v13, v18
.LBB25_48:
	s_or_b32 exec_lo, exec_lo, s3
	s_waitcnt lgkmcnt(0)
	v_add_nc_u32_e32 v3, v13, v3
	ds_bpermute_b32 v3, v17, v3
	s_waitcnt lgkmcnt(0)
	v_cndmask_b32_e64 v3, v3, v13, s0
	s_delay_alu instid0(VALU_DEP_1) | instskip(NEXT) | instid1(VALU_DEP_1)
	v_cndmask_b32_e64 v3, v3, 0, s1
	v_add_nc_u32_e32 v4, v3, v4
	s_delay_alu instid0(VALU_DEP_1) | instskip(NEXT) | instid1(VALU_DEP_1)
	v_add_nc_u32_e32 v5, v4, v5
	v_add_nc_u32_e32 v6, v5, v6
	s_delay_alu instid0(VALU_DEP_1) | instskip(NEXT) | instid1(VALU_DEP_1)
	v_add_nc_u32_e32 v17, v6, v7
	;; [unrolled: 3-line block ×3, first 2 shown]
	v_add_nc_u32_e32 v1, v0, v2
	ds_store_2addr_b64 v14, v[3:4], v[5:6] offset0:1 offset1:2
	ds_store_2addr_b64 v15, v[17:18], v[0:1] offset0:2 offset1:3
	s_waitcnt lgkmcnt(0)
	s_barrier
	buffer_gl0_inv
	ds_load_b32 v0, v12 offset:8
	v_lshlrev_b32_e32 v1, 2, v11
	s_waitcnt lgkmcnt(0)
	s_barrier
	buffer_gl0_inv
	v_lshl_add_u32 v0, v0, 2, v1
	ds_store_b32 v0, v10
	s_waitcnt lgkmcnt(0)
	s_barrier
	buffer_gl0_inv
	ds_load_b32 v0, v16
	s_waitcnt lgkmcnt(0)
	global_store_b32 v[8:9], v0, off
	s_nop 0
	s_sendmsg sendmsg(MSG_DEALLOC_VGPRS)
	s_endpgm
	.section	.rodata,"a",@progbits
	.p2align	6, 0x0
	.amdhsa_kernel _Z15sort_key_kernelILj64ELj1ELb0ELb0EjEvPT3_jj
		.amdhsa_group_segment_fixed_size 2064
		.amdhsa_private_segment_fixed_size 0
		.amdhsa_kernarg_size 272
		.amdhsa_user_sgpr_count 15
		.amdhsa_user_sgpr_dispatch_ptr 0
		.amdhsa_user_sgpr_queue_ptr 0
		.amdhsa_user_sgpr_kernarg_segment_ptr 1
		.amdhsa_user_sgpr_dispatch_id 0
		.amdhsa_user_sgpr_private_segment_size 0
		.amdhsa_wavefront_size32 1
		.amdhsa_uses_dynamic_stack 0
		.amdhsa_enable_private_segment 0
		.amdhsa_system_sgpr_workgroup_id_x 1
		.amdhsa_system_sgpr_workgroup_id_y 0
		.amdhsa_system_sgpr_workgroup_id_z 0
		.amdhsa_system_sgpr_workgroup_info 0
		.amdhsa_system_vgpr_workitem_id 2
		.amdhsa_next_free_vgpr 28
		.amdhsa_next_free_sgpr 20
		.amdhsa_reserve_vcc 1
		.amdhsa_float_round_mode_32 0
		.amdhsa_float_round_mode_16_64 0
		.amdhsa_float_denorm_mode_32 3
		.amdhsa_float_denorm_mode_16_64 3
		.amdhsa_dx10_clamp 1
		.amdhsa_ieee_mode 1
		.amdhsa_fp16_overflow 0
		.amdhsa_workgroup_processor_mode 1
		.amdhsa_memory_ordered 1
		.amdhsa_forward_progress 0
		.amdhsa_shared_vgpr_count 0
		.amdhsa_exception_fp_ieee_invalid_op 0
		.amdhsa_exception_fp_denorm_src 0
		.amdhsa_exception_fp_ieee_div_zero 0
		.amdhsa_exception_fp_ieee_overflow 0
		.amdhsa_exception_fp_ieee_underflow 0
		.amdhsa_exception_fp_ieee_inexact 0
		.amdhsa_exception_int_div_zero 0
	.end_amdhsa_kernel
	.section	.text._Z15sort_key_kernelILj64ELj1ELb0ELb0EjEvPT3_jj,"axG",@progbits,_Z15sort_key_kernelILj64ELj1ELb0ELb0EjEvPT3_jj,comdat
.Lfunc_end25:
	.size	_Z15sort_key_kernelILj64ELj1ELb0ELb0EjEvPT3_jj, .Lfunc_end25-_Z15sort_key_kernelILj64ELj1ELb0ELb0EjEvPT3_jj
                                        ; -- End function
	.section	.AMDGPU.csdata,"",@progbits
; Kernel info:
; codeLenInByte = 5052
; NumSgprs: 22
; NumVgprs: 28
; ScratchSize: 0
; MemoryBound: 0
; FloatMode: 240
; IeeeMode: 1
; LDSByteSize: 2064 bytes/workgroup (compile time only)
; SGPRBlocks: 2
; VGPRBlocks: 3
; NumSGPRsForWavesPerEU: 22
; NumVGPRsForWavesPerEU: 28
; Occupancy: 16
; WaveLimiterHint : 0
; COMPUTE_PGM_RSRC2:SCRATCH_EN: 0
; COMPUTE_PGM_RSRC2:USER_SGPR: 15
; COMPUTE_PGM_RSRC2:TRAP_HANDLER: 0
; COMPUTE_PGM_RSRC2:TGID_X_EN: 1
; COMPUTE_PGM_RSRC2:TGID_Y_EN: 0
; COMPUTE_PGM_RSRC2:TGID_Z_EN: 0
; COMPUTE_PGM_RSRC2:TIDIG_COMP_CNT: 2
	.section	.text._Z15sort_key_kernelILj64ELj1ELb0ELb0EoEvPT3_jj,"axG",@progbits,_Z15sort_key_kernelILj64ELj1ELb0ELb0EoEvPT3_jj,comdat
	.protected	_Z15sort_key_kernelILj64ELj1ELb0ELb0EoEvPT3_jj ; -- Begin function _Z15sort_key_kernelILj64ELj1ELb0ELb0EoEvPT3_jj
	.globl	_Z15sort_key_kernelILj64ELj1ELb0ELb0EoEvPT3_jj
	.p2align	8
	.type	_Z15sort_key_kernelILj64ELj1ELb0ELb0EoEvPT3_jj,@function
_Z15sort_key_kernelILj64ELj1ELb0ELb0EoEvPT3_jj: ; @_Z15sort_key_kernelILj64ELj1ELb0ELb0EoEvPT3_jj
; %bb.0:
	s_clause 0x1
	s_load_b128 s[16:19], s[0:1], 0x0
	s_load_b32 s4, s[0:1], 0x1c
	v_mbcnt_lo_u32_b32 v8, -1, 0
	v_and_b32_e32 v5, 0x3ff, v0
	s_lshl_b32 s12, s15, 6
	s_mov_b32 s13, 0
	v_bfe_u32 v6, v0, 10, 10
	v_add_nc_u32_e32 v9, -1, v8
	s_lshl_b64 s[2:3], s[12:13], 4
	v_bfe_u32 v0, v0, 20, 10
	v_lshlrev_b32_e32 v24, 5, v5
	v_cmp_gt_u32_e64 s6, 2, v5
	v_cmp_gt_i32_e32 vcc_lo, 0, v9
	v_lshlrev_b32_e32 v23, 4, v5
	v_cmp_lt_u32_e64 s7, 31, v5
	v_cmp_eq_u32_e64 s9, 0, v5
	v_or_b32_e32 v25, 8, v24
	v_cmp_eq_u32_e64 s8, 0, v8
	s_waitcnt lgkmcnt(0)
	s_add_u32 s0, s16, s2
	s_addc_u32 s1, s17, s3
	s_cmp_eq_u32 s18, 0
	global_load_b128 v[1:4], v23, s[0:1]
	s_cselect_b32 s2, -1, 0
	s_cmpk_eq_i32 s19, 0x80
	v_add_co_u32 v17, s0, s0, v23
	s_cselect_b32 s3, -1, 0
	s_lshr_b32 s5, s4, 16
	s_and_b32 s4, s4, 0xffff
	v_mad_u32_u24 v0, v0, s5, v6
	v_add_co_ci_u32_e64 v18, null, s1, 0, s0
	s_and_b32 s11, s2, s3
	s_delay_alu instid0(VALU_DEP_2) | instskip(SKIP_2) | instid1(VALU_DEP_2)
	v_mad_u64_u32 v[6:7], null, v0, s4, v[5:6]
	v_and_b32_e32 v0, 15, v8
	v_and_b32_e32 v7, 16, v8
	v_cmp_eq_u32_e64 s0, 0, v0
	s_delay_alu instid0(VALU_DEP_4)
	v_lshrrev_b32_e32 v26, 5, v6
	v_and_b32_e32 v6, 32, v5
	v_cmp_lt_u32_e64 s1, 1, v0
	v_cmp_lt_u32_e64 s2, 3, v0
	;; [unrolled: 1-line block ×3, first 2 shown]
	v_cndmask_b32_e32 v0, v9, v8, vcc_lo
	v_or_b32_e32 v10, 31, v6
	v_cmp_eq_u32_e64 s4, 0, v7
	v_lshrrev_b32_e32 v7, 3, v5
	v_or_b32_e32 v6, v8, v6
	v_lshlrev_b32_e32 v27, 2, v0
	v_cmp_eq_u32_e64 s5, v10, v5
	v_and_b32_e32 v0, 1, v8
	v_and_b32_e32 v28, 4, v7
	v_mul_i32_i24_e32 v5, 0xffffffe4, v5
	v_lshlrev_b32_e32 v30, 4, v6
	s_and_b32 vcc_lo, exec_lo, s11
	v_cmp_eq_u32_e64 s10, 0, v0
	v_add_nc_u32_e32 v29, -4, v28
	v_add_nc_u32_e32 v31, v24, v5
	s_mov_b32 s11, -1
	s_cbranch_vccz .LBB26_3
; %bb.1:
	s_and_b32 vcc_lo, exec_lo, s11
	s_cbranch_vccnz .LBB26_16
.LBB26_2:
	s_waitcnt vmcnt(0)
	buffer_gl0_inv
	ds_load_b128 v[0:3], v23
	s_waitcnt lgkmcnt(0)
	global_store_b128 v[17:18], v[0:3], off
	s_nop 0
	s_sendmsg sendmsg(MSG_DEALLOC_VGPRS)
	s_endpgm
.LBB26_3:
	s_mov_b32 s12, s13
	s_mov_b32 s14, s13
	;; [unrolled: 1-line block ×3, first 2 shown]
	v_dual_mov_b32 v20, s13 :: v_dual_mov_b32 v19, s12
	v_dual_mov_b32 v22, s15 :: v_dual_mov_b32 v21, s14
	s_waitcnt vmcnt(0)
	v_dual_mov_b32 v10, v2 :: v_dual_mov_b32 v9, v1
	v_dual_mov_b32 v12, v4 :: v_dual_mov_b32 v11, v3
	s_sub_i32 s12, s19, s18
	s_branch .LBB26_5
.LBB26_4:                               ;   in Loop: Header=BB26_5 Depth=1
	s_barrier
	buffer_gl0_inv
	ds_store_b128 v0, v[5:8]
	s_waitcnt lgkmcnt(0)
	s_barrier
	buffer_gl0_inv
	ds_load_b128 v[9:12], v30
	s_add_i32 s12, s12, -8
	s_waitcnt lgkmcnt(0)
	s_barrier
	buffer_gl0_inv
	s_cbranch_execz .LBB26_15
.LBB26_5:                               ; =>This Inner Loop Header: Depth=1
	s_delay_alu instid0(VALU_DEP_2) | instskip(NEXT) | instid1(VALU_DEP_2)
	v_dual_mov_b32 v5, v9 :: v_dual_mov_b32 v6, v10
	v_dual_mov_b32 v7, v11 :: v_dual_mov_b32 v8, v12
	s_sub_i32 s11, 64, s18
	ds_store_2addr_b64 v24, v[19:20], v[21:22] offset0:1 offset1:2
	ds_store_2addr_b64 v25, v[19:20], v[21:22] offset0:2 offset1:3
	v_lshrrev_b64 v[9:10], s18, v[5:6]
	s_waitcnt lgkmcnt(0)
	v_lshlrev_b64 v[10:11], s11, v[7:8]
	s_sub_i32 s11, s18, 64
	s_barrier
	v_lshrrev_b64 v[11:12], s11, v[7:8]
	s_min_u32 s11, s12, 8
	s_cmp_lt_u32 s18, 64
	v_or_b32_e32 v0, v9, v10
	s_cselect_b32 vcc_lo, -1, 0
	s_cmp_eq_u32 s18, 0
	buffer_gl0_inv
	v_cndmask_b32_e32 v0, v11, v0, vcc_lo
	s_cselect_b32 vcc_lo, -1, 0
	; wave barrier
	s_delay_alu instid0(VALU_DEP_1) | instskip(NEXT) | instid1(VALU_DEP_1)
	v_cndmask_b32_e32 v0, v0, v5, vcc_lo
	v_bfe_u32 v10, v0, 0, s11
	s_delay_alu instid0(VALU_DEP_1)
	v_lshlrev_b32_e32 v11, 29, v10
	v_and_b32_e32 v0, 1, v10
	v_lshlrev_b32_e32 v9, 30, v10
	v_lshlrev_b32_e32 v12, 28, v10
	v_lshlrev_b32_e32 v14, 27, v10
	v_lshlrev_b32_e32 v15, 26, v10
	v_add_co_u32 v0, s11, v0, -1
	s_delay_alu instid0(VALU_DEP_1)
	v_cndmask_b32_e64 v13, 0, 1, s11
	v_not_b32_e32 v32, v9
	v_cmp_gt_i32_e64 s11, 0, v9
	v_not_b32_e32 v9, v11
	v_lshlrev_b32_e32 v16, 25, v10
	v_cmp_ne_u32_e32 vcc_lo, 0, v13
	v_ashrrev_i32_e32 v32, 31, v32
	v_lshlrev_b32_e32 v13, 24, v10
	v_ashrrev_i32_e32 v9, 31, v9
	v_lshl_add_u32 v10, v10, 1, v26
	v_xor_b32_e32 v0, vcc_lo, v0
	v_cmp_gt_i32_e32 vcc_lo, 0, v11
	v_not_b32_e32 v11, v12
	v_xor_b32_e32 v32, s11, v32
	v_cmp_gt_i32_e64 s11, 0, v12
	v_and_b32_e32 v0, exec_lo, v0
	v_not_b32_e32 v12, v14
	v_ashrrev_i32_e32 v11, 31, v11
	v_xor_b32_e32 v9, vcc_lo, v9
	v_cmp_gt_i32_e32 vcc_lo, 0, v14
	v_and_b32_e32 v0, v0, v32
	v_not_b32_e32 v14, v15
	v_ashrrev_i32_e32 v12, 31, v12
	v_xor_b32_e32 v11, s11, v11
	v_cmp_gt_i32_e64 s11, 0, v15
	v_and_b32_e32 v0, v0, v9
	v_not_b32_e32 v9, v16
	v_ashrrev_i32_e32 v14, 31, v14
	v_xor_b32_e32 v12, vcc_lo, v12
	v_cmp_gt_i32_e32 vcc_lo, 0, v16
	v_and_b32_e32 v0, v0, v11
	v_not_b32_e32 v11, v13
	v_ashrrev_i32_e32 v9, 31, v9
	v_xor_b32_e32 v14, s11, v14
	v_cmp_gt_i32_e64 s11, 0, v13
	v_and_b32_e32 v0, v0, v12
	v_ashrrev_i32_e32 v11, 31, v11
	v_xor_b32_e32 v9, vcc_lo, v9
	v_lshl_add_u32 v32, v10, 2, 8
	s_delay_alu instid0(VALU_DEP_4) | instskip(NEXT) | instid1(VALU_DEP_4)
	v_and_b32_e32 v0, v0, v14
	v_xor_b32_e32 v11, s11, v11
	s_delay_alu instid0(VALU_DEP_2) | instskip(NEXT) | instid1(VALU_DEP_1)
	v_and_b32_e32 v0, v0, v9
	v_and_b32_e32 v9, v0, v11
	s_delay_alu instid0(VALU_DEP_1) | instskip(SKIP_1) | instid1(VALU_DEP_2)
	v_mbcnt_lo_u32_b32 v0, v9, 0
	v_cmp_ne_u32_e64 s11, 0, v9
	v_cmp_eq_u32_e32 vcc_lo, 0, v0
	s_delay_alu instid0(VALU_DEP_2) | instskip(NEXT) | instid1(SALU_CYCLE_1)
	s_and_b32 s13, s11, vcc_lo
	s_and_saveexec_b32 s11, s13
	s_cbranch_execz .LBB26_7
; %bb.6:                                ;   in Loop: Header=BB26_5 Depth=1
	v_bcnt_u32_b32 v9, v9, 0
	ds_store_b32 v32, v9
.LBB26_7:                               ;   in Loop: Header=BB26_5 Depth=1
	s_or_b32 exec_lo, exec_lo, s11
	; wave barrier
	s_waitcnt lgkmcnt(0)
	s_barrier
	buffer_gl0_inv
	ds_load_2addr_b64 v[13:16], v24 offset0:1 offset1:2
	ds_load_2addr_b64 v[9:12], v25 offset0:2 offset1:3
	s_waitcnt lgkmcnt(1)
	v_add_nc_u32_e32 v33, v14, v13
	s_delay_alu instid0(VALU_DEP_1) | instskip(SKIP_1) | instid1(VALU_DEP_1)
	v_add3_u32 v33, v33, v15, v16
	s_waitcnt lgkmcnt(0)
	v_add3_u32 v33, v33, v9, v10
	s_delay_alu instid0(VALU_DEP_1) | instskip(NEXT) | instid1(VALU_DEP_1)
	v_add3_u32 v12, v33, v11, v12
	v_mov_b32_dpp v33, v12 row_shr:1 row_mask:0xf bank_mask:0xf
	s_delay_alu instid0(VALU_DEP_1) | instskip(NEXT) | instid1(VALU_DEP_1)
	v_cndmask_b32_e64 v33, v33, 0, s0
	v_add_nc_u32_e32 v12, v33, v12
	s_delay_alu instid0(VALU_DEP_1) | instskip(NEXT) | instid1(VALU_DEP_1)
	v_mov_b32_dpp v33, v12 row_shr:2 row_mask:0xf bank_mask:0xf
	v_cndmask_b32_e64 v33, 0, v33, s1
	s_delay_alu instid0(VALU_DEP_1) | instskip(NEXT) | instid1(VALU_DEP_1)
	v_add_nc_u32_e32 v12, v12, v33
	v_mov_b32_dpp v33, v12 row_shr:4 row_mask:0xf bank_mask:0xf
	s_delay_alu instid0(VALU_DEP_1) | instskip(NEXT) | instid1(VALU_DEP_1)
	v_cndmask_b32_e64 v33, 0, v33, s2
	v_add_nc_u32_e32 v12, v12, v33
	s_delay_alu instid0(VALU_DEP_1) | instskip(NEXT) | instid1(VALU_DEP_1)
	v_mov_b32_dpp v33, v12 row_shr:8 row_mask:0xf bank_mask:0xf
	v_cndmask_b32_e64 v33, 0, v33, s3
	s_delay_alu instid0(VALU_DEP_1) | instskip(SKIP_3) | instid1(VALU_DEP_1)
	v_add_nc_u32_e32 v12, v12, v33
	ds_swizzle_b32 v33, v12 offset:swizzle(BROADCAST,32,15)
	s_waitcnt lgkmcnt(0)
	v_cndmask_b32_e64 v33, v33, 0, s4
	v_add_nc_u32_e32 v12, v12, v33
	s_and_saveexec_b32 s11, s5
	s_cbranch_execz .LBB26_9
; %bb.8:                                ;   in Loop: Header=BB26_5 Depth=1
	ds_store_b32 v28, v12
.LBB26_9:                               ;   in Loop: Header=BB26_5 Depth=1
	s_or_b32 exec_lo, exec_lo, s11
	s_waitcnt lgkmcnt(0)
	s_barrier
	buffer_gl0_inv
	s_and_saveexec_b32 s11, s6
	s_cbranch_execz .LBB26_11
; %bb.10:                               ;   in Loop: Header=BB26_5 Depth=1
	ds_load_b32 v33, v31
	s_waitcnt lgkmcnt(0)
	v_mov_b32_dpp v34, v33 row_shr:1 row_mask:0xf bank_mask:0xf
	s_delay_alu instid0(VALU_DEP_1) | instskip(NEXT) | instid1(VALU_DEP_1)
	v_cndmask_b32_e64 v34, v34, 0, s10
	v_add_nc_u32_e32 v33, v34, v33
	ds_store_b32 v31, v33
.LBB26_11:                              ;   in Loop: Header=BB26_5 Depth=1
	s_or_b32 exec_lo, exec_lo, s11
	v_mov_b32_e32 v33, 0
	s_waitcnt lgkmcnt(0)
	s_barrier
	buffer_gl0_inv
	s_and_saveexec_b32 s11, s7
	s_cbranch_execz .LBB26_13
; %bb.12:                               ;   in Loop: Header=BB26_5 Depth=1
	ds_load_b32 v33, v29
.LBB26_13:                              ;   in Loop: Header=BB26_5 Depth=1
	s_or_b32 exec_lo, exec_lo, s11
	s_waitcnt lgkmcnt(0)
	v_add_nc_u32_e32 v12, v33, v12
	v_lshlrev_b32_e32 v0, 4, v0
	s_add_i32 s18, s18, 8
	s_delay_alu instid0(SALU_CYCLE_1) | instskip(SKIP_3) | instid1(VALU_DEP_1)
	s_cmp_ge_u32 s18, s19
	ds_bpermute_b32 v12, v27, v12
	s_waitcnt lgkmcnt(0)
	v_cndmask_b32_e64 v12, v12, v33, s8
	v_cndmask_b32_e64 v12, v12, 0, s9
	s_delay_alu instid0(VALU_DEP_1) | instskip(NEXT) | instid1(VALU_DEP_1)
	v_add_nc_u32_e32 v13, v12, v13
	v_add_nc_u32_e32 v14, v13, v14
	s_delay_alu instid0(VALU_DEP_1) | instskip(NEXT) | instid1(VALU_DEP_1)
	v_add_nc_u32_e32 v15, v14, v15
	v_add_nc_u32_e32 v33, v15, v16
	;; [unrolled: 3-line block ×3, first 2 shown]
	s_delay_alu instid0(VALU_DEP_1)
	v_add_nc_u32_e32 v10, v9, v11
	ds_store_2addr_b64 v24, v[12:13], v[14:15] offset0:1 offset1:2
	ds_store_2addr_b64 v25, v[33:34], v[9:10] offset0:2 offset1:3
	s_waitcnt lgkmcnt(0)
	s_barrier
	buffer_gl0_inv
	ds_load_b32 v9, v32
	s_waitcnt lgkmcnt(0)
	v_lshl_add_u32 v0, v9, 4, v0
	s_cbranch_scc0 .LBB26_4
; %bb.14:
                                        ; implicit-def: $vgpr9_vgpr10
                                        ; implicit-def: $sgpr12
.LBB26_15:
	s_barrier
	buffer_gl0_inv
	ds_store_b128 v0, v[5:8]
	s_waitcnt lgkmcnt(0)
	s_barrier
	s_branch .LBB26_2
.LBB26_16:
	s_mov_b32 s12, 0
	s_delay_alu instid0(SALU_CYCLE_1)
	s_mov_b32 s13, s12
	s_mov_b32 s14, s12
	;; [unrolled: 1-line block ×3, first 2 shown]
	v_dual_mov_b32 v14, s13 :: v_dual_mov_b32 v13, s12
	v_dual_mov_b32 v16, s15 :: v_dual_mov_b32 v15, s14
	s_branch .LBB26_18
.LBB26_17:                              ;   in Loop: Header=BB26_18 Depth=1
	s_delay_alu instid0(VALU_DEP_1)
	v_lshlrev_b32_e32 v1, 4, v0
	s_barrier
	buffer_gl0_inv
	s_add_i32 s12, s12, 8
	ds_store_b128 v1, v[5:8]
	s_waitcnt lgkmcnt(0)
	s_barrier
	buffer_gl0_inv
	ds_load_b128 v[1:4], v30
	s_waitcnt lgkmcnt(0)
	s_barrier
	buffer_gl0_inv
	s_cbranch_execz .LBB26_28
.LBB26_18:                              ; =>This Inner Loop Header: Depth=1
	s_waitcnt vmcnt(0)
	v_dual_mov_b32 v6, v2 :: v_dual_mov_b32 v5, v1
	v_dual_mov_b32 v8, v4 :: v_dual_mov_b32 v7, v3
	s_sub_i32 s11, 64, s12
	ds_store_2addr_b64 v24, v[13:14], v[15:16] offset0:1 offset1:2
	ds_store_2addr_b64 v25, v[13:14], v[15:16] offset0:2 offset1:3
	v_lshrrev_b64 v[0:1], s12, v[5:6]
	s_waitcnt lgkmcnt(0)
	v_lshlrev_b64 v[1:2], s11, v[7:8]
	s_sub_i32 s11, s12, 64
	s_cmp_lt_u32 s12, 64
	v_lshrrev_b64 v[2:3], s11, v[7:8]
	s_cselect_b32 vcc_lo, -1, 0
	s_cmp_eq_u32 s12, 0
	v_or_b32_e32 v0, v0, v1
	s_barrier
	buffer_gl0_inv
	; wave barrier
	v_cndmask_b32_e32 v0, v2, v0, vcc_lo
	s_cselect_b32 vcc_lo, -1, 0
	s_delay_alu instid0(VALU_DEP_1) | instskip(NEXT) | instid1(VALU_DEP_1)
	v_cndmask_b32_e32 v1, v0, v5, vcc_lo
	v_and_b32_e32 v0, 1, v1
	s_delay_alu instid0(VALU_DEP_1) | instskip(NEXT) | instid1(VALU_DEP_1)
	v_add_co_u32 v0, s11, v0, -1
	v_cndmask_b32_e64 v9, 0, 1, s11
	s_delay_alu instid0(VALU_DEP_1) | instskip(NEXT) | instid1(VALU_DEP_3)
	v_cmp_ne_u32_e32 vcc_lo, 0, v9
	v_xor_b32_e32 v0, vcc_lo, v0
	s_delay_alu instid0(VALU_DEP_1)
	v_and_b32_e32 v0, exec_lo, v0
	v_lshlrev_b32_e32 v2, 30, v1
	v_lshlrev_b32_e32 v3, 29, v1
	;; [unrolled: 1-line block ×5, first 2 shown]
	v_not_b32_e32 v19, v2
	v_cmp_gt_i32_e64 s11, 0, v2
	v_not_b32_e32 v2, v3
	v_cmp_gt_i32_e32 vcc_lo, 0, v3
	v_not_b32_e32 v3, v4
	v_ashrrev_i32_e32 v19, 31, v19
	v_lshlrev_b32_e32 v12, 25, v1
	v_ashrrev_i32_e32 v2, 31, v2
	v_lshlrev_b32_e32 v9, 24, v1
	v_ashrrev_i32_e32 v3, 31, v3
	v_xor_b32_e32 v19, s11, v19
	v_cmp_gt_i32_e64 s11, 0, v4
	v_not_b32_e32 v4, v10
	v_xor_b32_e32 v2, vcc_lo, v2
	v_cmp_gt_i32_e32 vcc_lo, 0, v10
	v_and_b32_e32 v0, v0, v19
	v_not_b32_e32 v10, v11
	v_ashrrev_i32_e32 v4, 31, v4
	v_xor_b32_e32 v3, s11, v3
	v_cmp_gt_i32_e64 s11, 0, v11
	v_and_b32_e32 v0, v0, v2
	v_not_b32_e32 v2, v12
	v_ashrrev_i32_e32 v10, 31, v10
	v_xor_b32_e32 v4, vcc_lo, v4
	v_cmp_gt_i32_e32 vcc_lo, 0, v12
	v_and_b32_e32 v0, v0, v3
	v_not_b32_e32 v3, v9
	v_ashrrev_i32_e32 v2, 31, v2
	v_xor_b32_e32 v10, s11, v10
	v_cmp_gt_i32_e64 s11, 0, v9
	v_and_b32_e32 v0, v0, v4
	v_ashrrev_i32_e32 v3, 31, v3
	v_xor_b32_e32 v2, vcc_lo, v2
	v_and_b32_e32 v1, 0xff, v1
	s_delay_alu instid0(VALU_DEP_4) | instskip(NEXT) | instid1(VALU_DEP_4)
	v_and_b32_e32 v0, v0, v10
	v_xor_b32_e32 v3, s11, v3
	s_delay_alu instid0(VALU_DEP_3) | instskip(NEXT) | instid1(VALU_DEP_3)
	v_lshl_add_u32 v1, v1, 1, v26
	v_and_b32_e32 v0, v0, v2
	s_delay_alu instid0(VALU_DEP_2) | instskip(NEXT) | instid1(VALU_DEP_2)
	v_lshl_add_u32 v19, v1, 2, 8
	v_and_b32_e32 v0, v0, v3
	s_delay_alu instid0(VALU_DEP_1) | instskip(SKIP_1) | instid1(VALU_DEP_2)
	v_mbcnt_lo_u32_b32 v4, v0, 0
	v_cmp_ne_u32_e64 s11, 0, v0
	v_cmp_eq_u32_e32 vcc_lo, 0, v4
	s_delay_alu instid0(VALU_DEP_2) | instskip(NEXT) | instid1(SALU_CYCLE_1)
	s_and_b32 s13, s11, vcc_lo
	s_and_saveexec_b32 s11, s13
	s_cbranch_execz .LBB26_20
; %bb.19:                               ;   in Loop: Header=BB26_18 Depth=1
	v_bcnt_u32_b32 v0, v0, 0
	ds_store_b32 v19, v0
.LBB26_20:                              ;   in Loop: Header=BB26_18 Depth=1
	s_or_b32 exec_lo, exec_lo, s11
	; wave barrier
	s_waitcnt lgkmcnt(0)
	s_barrier
	buffer_gl0_inv
	ds_load_2addr_b64 v[9:12], v24 offset0:1 offset1:2
	ds_load_2addr_b64 v[0:3], v25 offset0:2 offset1:3
	s_waitcnt lgkmcnt(1)
	v_add_nc_u32_e32 v20, v10, v9
	s_delay_alu instid0(VALU_DEP_1) | instskip(SKIP_1) | instid1(VALU_DEP_1)
	v_add3_u32 v20, v20, v11, v12
	s_waitcnt lgkmcnt(0)
	v_add3_u32 v20, v20, v0, v1
	s_delay_alu instid0(VALU_DEP_1) | instskip(NEXT) | instid1(VALU_DEP_1)
	v_add3_u32 v3, v20, v2, v3
	v_mov_b32_dpp v20, v3 row_shr:1 row_mask:0xf bank_mask:0xf
	s_delay_alu instid0(VALU_DEP_1) | instskip(NEXT) | instid1(VALU_DEP_1)
	v_cndmask_b32_e64 v20, v20, 0, s0
	v_add_nc_u32_e32 v3, v20, v3
	s_delay_alu instid0(VALU_DEP_1) | instskip(NEXT) | instid1(VALU_DEP_1)
	v_mov_b32_dpp v20, v3 row_shr:2 row_mask:0xf bank_mask:0xf
	v_cndmask_b32_e64 v20, 0, v20, s1
	s_delay_alu instid0(VALU_DEP_1) | instskip(NEXT) | instid1(VALU_DEP_1)
	v_add_nc_u32_e32 v3, v3, v20
	v_mov_b32_dpp v20, v3 row_shr:4 row_mask:0xf bank_mask:0xf
	s_delay_alu instid0(VALU_DEP_1) | instskip(NEXT) | instid1(VALU_DEP_1)
	v_cndmask_b32_e64 v20, 0, v20, s2
	v_add_nc_u32_e32 v3, v3, v20
	s_delay_alu instid0(VALU_DEP_1) | instskip(NEXT) | instid1(VALU_DEP_1)
	v_mov_b32_dpp v20, v3 row_shr:8 row_mask:0xf bank_mask:0xf
	v_cndmask_b32_e64 v20, 0, v20, s3
	s_delay_alu instid0(VALU_DEP_1) | instskip(SKIP_3) | instid1(VALU_DEP_1)
	v_add_nc_u32_e32 v3, v3, v20
	ds_swizzle_b32 v20, v3 offset:swizzle(BROADCAST,32,15)
	s_waitcnt lgkmcnt(0)
	v_cndmask_b32_e64 v20, v20, 0, s4
	v_add_nc_u32_e32 v3, v3, v20
	s_and_saveexec_b32 s11, s5
	s_cbranch_execz .LBB26_22
; %bb.21:                               ;   in Loop: Header=BB26_18 Depth=1
	ds_store_b32 v28, v3
.LBB26_22:                              ;   in Loop: Header=BB26_18 Depth=1
	s_or_b32 exec_lo, exec_lo, s11
	s_waitcnt lgkmcnt(0)
	s_barrier
	buffer_gl0_inv
	s_and_saveexec_b32 s11, s6
	s_cbranch_execz .LBB26_24
; %bb.23:                               ;   in Loop: Header=BB26_18 Depth=1
	ds_load_b32 v20, v31
	s_waitcnt lgkmcnt(0)
	v_mov_b32_dpp v21, v20 row_shr:1 row_mask:0xf bank_mask:0xf
	s_delay_alu instid0(VALU_DEP_1) | instskip(NEXT) | instid1(VALU_DEP_1)
	v_cndmask_b32_e64 v21, v21, 0, s10
	v_add_nc_u32_e32 v20, v21, v20
	ds_store_b32 v31, v20
.LBB26_24:                              ;   in Loop: Header=BB26_18 Depth=1
	s_or_b32 exec_lo, exec_lo, s11
	v_mov_b32_e32 v20, 0
	s_waitcnt lgkmcnt(0)
	s_barrier
	buffer_gl0_inv
	s_and_saveexec_b32 s11, s7
	s_cbranch_execz .LBB26_26
; %bb.25:                               ;   in Loop: Header=BB26_18 Depth=1
	ds_load_b32 v20, v29
.LBB26_26:                              ;   in Loop: Header=BB26_18 Depth=1
	s_or_b32 exec_lo, exec_lo, s11
	s_waitcnt lgkmcnt(0)
	v_add_nc_u32_e32 v3, v20, v3
	s_cmpk_gt_u32 s12, 0x77
	ds_bpermute_b32 v3, v27, v3
	s_waitcnt lgkmcnt(0)
	v_cndmask_b32_e64 v3, v3, v20, s8
	s_delay_alu instid0(VALU_DEP_1) | instskip(NEXT) | instid1(VALU_DEP_1)
	v_cndmask_b32_e64 v20, v3, 0, s9
	v_add_nc_u32_e32 v21, v20, v9
	s_delay_alu instid0(VALU_DEP_1) | instskip(NEXT) | instid1(VALU_DEP_1)
	v_add_nc_u32_e32 v9, v21, v10
	v_add_nc_u32_e32 v10, v9, v11
	s_delay_alu instid0(VALU_DEP_1) | instskip(NEXT) | instid1(VALU_DEP_1)
	v_add_nc_u32_e32 v11, v10, v12
	;; [unrolled: 3-line block ×3, first 2 shown]
	v_add_nc_u32_e32 v1, v0, v2
	ds_store_2addr_b64 v24, v[20:21], v[9:10] offset0:1 offset1:2
	ds_store_2addr_b64 v25, v[11:12], v[0:1] offset0:2 offset1:3
	s_waitcnt lgkmcnt(0)
	s_barrier
	buffer_gl0_inv
	ds_load_b32 v0, v19
	s_waitcnt lgkmcnt(0)
	v_add_nc_u32_e32 v0, v0, v4
	s_cbranch_scc0 .LBB26_17
; %bb.27:
                                        ; implicit-def: $sgpr12
                                        ; implicit-def: $vgpr1_vgpr2
.LBB26_28:
	s_delay_alu instid0(VALU_DEP_1)
	v_lshlrev_b32_e32 v0, 4, v0
	s_barrier
	buffer_gl0_inv
	ds_store_b128 v0, v[5:8]
	s_waitcnt lgkmcnt(0)
	s_barrier
	buffer_gl0_inv
	ds_load_b128 v[0:3], v23
	s_waitcnt lgkmcnt(0)
	global_store_b128 v[17:18], v[0:3], off
	s_nop 0
	s_sendmsg sendmsg(MSG_DEALLOC_VGPRS)
	s_endpgm
	.section	.rodata,"a",@progbits
	.p2align	6, 0x0
	.amdhsa_kernel _Z15sort_key_kernelILj64ELj1ELb0ELb0EoEvPT3_jj
		.amdhsa_group_segment_fixed_size 2064
		.amdhsa_private_segment_fixed_size 0
		.amdhsa_kernarg_size 272
		.amdhsa_user_sgpr_count 15
		.amdhsa_user_sgpr_dispatch_ptr 0
		.amdhsa_user_sgpr_queue_ptr 0
		.amdhsa_user_sgpr_kernarg_segment_ptr 1
		.amdhsa_user_sgpr_dispatch_id 0
		.amdhsa_user_sgpr_private_segment_size 0
		.amdhsa_wavefront_size32 1
		.amdhsa_uses_dynamic_stack 0
		.amdhsa_enable_private_segment 0
		.amdhsa_system_sgpr_workgroup_id_x 1
		.amdhsa_system_sgpr_workgroup_id_y 0
		.amdhsa_system_sgpr_workgroup_id_z 0
		.amdhsa_system_sgpr_workgroup_info 0
		.amdhsa_system_vgpr_workitem_id 2
		.amdhsa_next_free_vgpr 35
		.amdhsa_next_free_sgpr 20
		.amdhsa_reserve_vcc 1
		.amdhsa_float_round_mode_32 0
		.amdhsa_float_round_mode_16_64 0
		.amdhsa_float_denorm_mode_32 3
		.amdhsa_float_denorm_mode_16_64 3
		.amdhsa_dx10_clamp 1
		.amdhsa_ieee_mode 1
		.amdhsa_fp16_overflow 0
		.amdhsa_workgroup_processor_mode 1
		.amdhsa_memory_ordered 1
		.amdhsa_forward_progress 0
		.amdhsa_shared_vgpr_count 0
		.amdhsa_exception_fp_ieee_invalid_op 0
		.amdhsa_exception_fp_denorm_src 0
		.amdhsa_exception_fp_ieee_div_zero 0
		.amdhsa_exception_fp_ieee_overflow 0
		.amdhsa_exception_fp_ieee_underflow 0
		.amdhsa_exception_fp_ieee_inexact 0
		.amdhsa_exception_int_div_zero 0
	.end_amdhsa_kernel
	.section	.text._Z15sort_key_kernelILj64ELj1ELb0ELb0EoEvPT3_jj,"axG",@progbits,_Z15sort_key_kernelILj64ELj1ELb0ELb0EoEvPT3_jj,comdat
.Lfunc_end26:
	.size	_Z15sort_key_kernelILj64ELj1ELb0ELb0EoEvPT3_jj, .Lfunc_end26-_Z15sort_key_kernelILj64ELj1ELb0ELb0EoEvPT3_jj
                                        ; -- End function
	.section	.AMDGPU.csdata,"",@progbits
; Kernel info:
; codeLenInByte = 2576
; NumSgprs: 22
; NumVgprs: 35
; ScratchSize: 0
; MemoryBound: 0
; FloatMode: 240
; IeeeMode: 1
; LDSByteSize: 2064 bytes/workgroup (compile time only)
; SGPRBlocks: 2
; VGPRBlocks: 4
; NumSGPRsForWavesPerEU: 22
; NumVGPRsForWavesPerEU: 35
; Occupancy: 16
; WaveLimiterHint : 0
; COMPUTE_PGM_RSRC2:SCRATCH_EN: 0
; COMPUTE_PGM_RSRC2:USER_SGPR: 15
; COMPUTE_PGM_RSRC2:TRAP_HANDLER: 0
; COMPUTE_PGM_RSRC2:TGID_X_EN: 1
; COMPUTE_PGM_RSRC2:TGID_Y_EN: 0
; COMPUTE_PGM_RSRC2:TGID_Z_EN: 0
; COMPUTE_PGM_RSRC2:TIDIG_COMP_CNT: 2
	.section	.text._Z15sort_key_kernelILj64ELj1ELb0ELb0EnEvPT3_jj,"axG",@progbits,_Z15sort_key_kernelILj64ELj1ELb0ELb0EnEvPT3_jj,comdat
	.protected	_Z15sort_key_kernelILj64ELj1ELb0ELb0EnEvPT3_jj ; -- Begin function _Z15sort_key_kernelILj64ELj1ELb0ELb0EnEvPT3_jj
	.globl	_Z15sort_key_kernelILj64ELj1ELb0ELb0EnEvPT3_jj
	.p2align	8
	.type	_Z15sort_key_kernelILj64ELj1ELb0ELb0EnEvPT3_jj,@function
_Z15sort_key_kernelILj64ELj1ELb0ELb0EnEvPT3_jj: ; @_Z15sort_key_kernelILj64ELj1ELb0ELb0EnEvPT3_jj
; %bb.0:
	s_clause 0x1
	s_load_b128 s[16:19], s[0:1], 0x0
	s_load_b32 s11, s[0:1], 0x1c
	v_and_b32_e32 v5, 0x3ff, v0
	s_mov_b32 s13, 0
	s_lshl_b32 s12, s15, 6
	v_mbcnt_lo_u32_b32 v6, -1, 0
	s_lshl_b64 s[2:3], s[12:13], 4
	v_lshlrev_b32_e32 v23, 4, v5
	v_bfe_u32 v7, v0, 10, 10
	v_bfe_u32 v0, v0, 20, 10
	v_add_nc_u32_e32 v10, -1, v6
	v_and_b32_e32 v8, 15, v6
	v_and_b32_e32 v9, 16, v6
	;; [unrolled: 1-line block ×3, first 2 shown]
	v_cmp_eq_u32_e64 s0, 0, v6
	v_cmp_gt_i32_e32 vcc_lo, 0, v10
	v_cmp_eq_u32_e64 s1, 0, v8
	v_cmp_lt_u32_e64 s4, 7, v8
	v_lshlrev_b32_e32 v24, 5, v5
	v_cmp_eq_u32_e64 s5, 0, v9
	v_cndmask_b32_e32 v9, v10, v6, vcc_lo
	s_waitcnt lgkmcnt(0)
	s_add_u32 s14, s16, s2
	s_addc_u32 s15, s17, s3
	s_cmp_eq_u32 s18, 0
	global_load_b128 v[1:4], v23, s[14:15]
	s_cselect_b32 s12, -1, 0
	s_cmpk_eq_i32 s19, 0x80
	v_cmp_lt_u32_e64 s2, 1, v8
	s_cselect_b32 s16, -1, 0
	s_lshr_b32 s10, s11, 16
	v_cmp_lt_u32_e64 s3, 3, v8
	v_and_b32_e32 v8, 32, v5
	v_mad_u32_u24 v0, v0, s10, v7
	v_lshrrev_b32_e32 v10, 3, v5
	s_and_b32 s11, s11, 0xffff
	v_cmp_eq_u32_e64 s9, 0, v11
	v_or_b32_e32 v11, 31, v8
	v_or_b32_e32 v8, v6, v8
	v_mad_u64_u32 v[6:7], null, v0, s11, v[5:6]
	v_mul_i32_i24_e32 v12, 0xffffffe4, v5
	v_and_b32_e32 v27, 4, v10
	s_and_b32 s11, s12, s16
	v_add_co_u32 v17, s12, s14, v23
	v_cmp_gt_u32_e64 s6, 2, v5
	v_cmp_lt_u32_e64 s7, 31, v5
	v_cmp_eq_u32_e64 s8, 0, v5
	v_or_b32_e32 v25, 8, v24
	v_lshlrev_b32_e32 v26, 2, v9
	v_cmp_eq_u32_e64 s10, v11, v5
	v_add_nc_u32_e32 v28, -4, v27
	v_lshlrev_b32_e32 v29, 4, v8
	v_add_co_ci_u32_e64 v18, null, s15, 0, s12
	v_lshrrev_b32_e32 v30, 5, v6
	v_add_nc_u32_e32 v31, v24, v12
	s_and_b32 vcc_lo, exec_lo, s11
	s_mov_b32 s11, -1
	s_waitcnt vmcnt(0)
	v_xor_b32_e32 v4, 0x80000000, v4
	s_cbranch_vccnz .LBB27_14
; %bb.1:
	s_mov_b32 s12, s13
	s_mov_b32 s14, s13
	;; [unrolled: 1-line block ×3, first 2 shown]
	v_dual_mov_b32 v20, s13 :: v_dual_mov_b32 v19, s12
	v_dual_mov_b32 v22, s15 :: v_dual_mov_b32 v21, s14
	;; [unrolled: 1-line block ×4, first 2 shown]
	s_sub_i32 s12, s19, s18
	s_branch .LBB27_3
.LBB27_2:                               ;   in Loop: Header=BB27_3 Depth=1
	s_barrier
	buffer_gl0_inv
	ds_store_b128 v0, v[5:8]
	s_waitcnt lgkmcnt(0)
	s_barrier
	buffer_gl0_inv
	ds_load_b128 v[9:12], v29
	s_add_i32 s12, s12, -8
	s_waitcnt lgkmcnt(0)
	s_barrier
	buffer_gl0_inv
	s_cbranch_execz .LBB27_13
.LBB27_3:                               ; =>This Inner Loop Header: Depth=1
	s_delay_alu instid0(VALU_DEP_2) | instskip(NEXT) | instid1(VALU_DEP_2)
	v_dual_mov_b32 v5, v9 :: v_dual_mov_b32 v6, v10
	v_dual_mov_b32 v7, v11 :: v_dual_mov_b32 v8, v12
	s_sub_i32 s11, 64, s18
	ds_store_2addr_b64 v24, v[19:20], v[21:22] offset0:1 offset1:2
	ds_store_2addr_b64 v25, v[19:20], v[21:22] offset0:2 offset1:3
	v_lshrrev_b64 v[9:10], s18, v[5:6]
	s_waitcnt lgkmcnt(0)
	v_lshlrev_b64 v[10:11], s11, v[7:8]
	s_sub_i32 s11, s18, 64
	s_barrier
	v_lshrrev_b64 v[11:12], s11, v[7:8]
	s_min_u32 s11, s12, 8
	s_cmp_lt_u32 s18, 64
	v_or_b32_e32 v0, v9, v10
	s_cselect_b32 vcc_lo, -1, 0
	s_cmp_eq_u32 s18, 0
	buffer_gl0_inv
	v_cndmask_b32_e32 v0, v11, v0, vcc_lo
	s_cselect_b32 vcc_lo, -1, 0
	; wave barrier
	s_delay_alu instid0(VALU_DEP_1) | instskip(NEXT) | instid1(VALU_DEP_1)
	v_cndmask_b32_e32 v0, v0, v5, vcc_lo
	v_bfe_u32 v10, v0, 0, s11
	s_delay_alu instid0(VALU_DEP_1)
	v_lshlrev_b32_e32 v11, 29, v10
	v_and_b32_e32 v0, 1, v10
	v_lshlrev_b32_e32 v9, 30, v10
	v_lshlrev_b32_e32 v12, 28, v10
	;; [unrolled: 1-line block ×4, first 2 shown]
	v_add_co_u32 v0, s11, v0, -1
	s_delay_alu instid0(VALU_DEP_1)
	v_cndmask_b32_e64 v13, 0, 1, s11
	v_not_b32_e32 v32, v9
	v_cmp_gt_i32_e64 s11, 0, v9
	v_not_b32_e32 v9, v11
	v_lshlrev_b32_e32 v16, 25, v10
	v_cmp_ne_u32_e32 vcc_lo, 0, v13
	v_ashrrev_i32_e32 v32, 31, v32
	v_lshlrev_b32_e32 v13, 24, v10
	v_ashrrev_i32_e32 v9, 31, v9
	v_lshl_add_u32 v10, v10, 1, v30
	v_xor_b32_e32 v0, vcc_lo, v0
	v_cmp_gt_i32_e32 vcc_lo, 0, v11
	v_not_b32_e32 v11, v12
	v_xor_b32_e32 v32, s11, v32
	v_cmp_gt_i32_e64 s11, 0, v12
	v_and_b32_e32 v0, exec_lo, v0
	v_not_b32_e32 v12, v14
	v_ashrrev_i32_e32 v11, 31, v11
	v_xor_b32_e32 v9, vcc_lo, v9
	v_cmp_gt_i32_e32 vcc_lo, 0, v14
	v_and_b32_e32 v0, v0, v32
	v_not_b32_e32 v14, v15
	v_ashrrev_i32_e32 v12, 31, v12
	v_xor_b32_e32 v11, s11, v11
	v_cmp_gt_i32_e64 s11, 0, v15
	v_and_b32_e32 v0, v0, v9
	v_not_b32_e32 v9, v16
	v_ashrrev_i32_e32 v14, 31, v14
	v_xor_b32_e32 v12, vcc_lo, v12
	v_cmp_gt_i32_e32 vcc_lo, 0, v16
	v_and_b32_e32 v0, v0, v11
	v_not_b32_e32 v11, v13
	v_ashrrev_i32_e32 v9, 31, v9
	v_xor_b32_e32 v14, s11, v14
	v_cmp_gt_i32_e64 s11, 0, v13
	v_and_b32_e32 v0, v0, v12
	v_ashrrev_i32_e32 v11, 31, v11
	v_xor_b32_e32 v9, vcc_lo, v9
	v_lshl_add_u32 v32, v10, 2, 8
	s_delay_alu instid0(VALU_DEP_4) | instskip(NEXT) | instid1(VALU_DEP_4)
	v_and_b32_e32 v0, v0, v14
	v_xor_b32_e32 v11, s11, v11
	s_delay_alu instid0(VALU_DEP_2) | instskip(NEXT) | instid1(VALU_DEP_1)
	v_and_b32_e32 v0, v0, v9
	v_and_b32_e32 v9, v0, v11
	s_delay_alu instid0(VALU_DEP_1) | instskip(SKIP_1) | instid1(VALU_DEP_2)
	v_mbcnt_lo_u32_b32 v0, v9, 0
	v_cmp_ne_u32_e64 s11, 0, v9
	v_cmp_eq_u32_e32 vcc_lo, 0, v0
	s_delay_alu instid0(VALU_DEP_2) | instskip(NEXT) | instid1(SALU_CYCLE_1)
	s_and_b32 s13, s11, vcc_lo
	s_and_saveexec_b32 s11, s13
	s_cbranch_execz .LBB27_5
; %bb.4:                                ;   in Loop: Header=BB27_3 Depth=1
	v_bcnt_u32_b32 v9, v9, 0
	ds_store_b32 v32, v9
.LBB27_5:                               ;   in Loop: Header=BB27_3 Depth=1
	s_or_b32 exec_lo, exec_lo, s11
	; wave barrier
	s_waitcnt lgkmcnt(0)
	s_barrier
	buffer_gl0_inv
	ds_load_2addr_b64 v[13:16], v24 offset0:1 offset1:2
	ds_load_2addr_b64 v[9:12], v25 offset0:2 offset1:3
	s_waitcnt lgkmcnt(1)
	v_add_nc_u32_e32 v33, v14, v13
	s_delay_alu instid0(VALU_DEP_1) | instskip(SKIP_1) | instid1(VALU_DEP_1)
	v_add3_u32 v33, v33, v15, v16
	s_waitcnt lgkmcnt(0)
	v_add3_u32 v33, v33, v9, v10
	s_delay_alu instid0(VALU_DEP_1) | instskip(NEXT) | instid1(VALU_DEP_1)
	v_add3_u32 v12, v33, v11, v12
	v_mov_b32_dpp v33, v12 row_shr:1 row_mask:0xf bank_mask:0xf
	s_delay_alu instid0(VALU_DEP_1) | instskip(NEXT) | instid1(VALU_DEP_1)
	v_cndmask_b32_e64 v33, v33, 0, s1
	v_add_nc_u32_e32 v12, v33, v12
	s_delay_alu instid0(VALU_DEP_1) | instskip(NEXT) | instid1(VALU_DEP_1)
	v_mov_b32_dpp v33, v12 row_shr:2 row_mask:0xf bank_mask:0xf
	v_cndmask_b32_e64 v33, 0, v33, s2
	s_delay_alu instid0(VALU_DEP_1) | instskip(NEXT) | instid1(VALU_DEP_1)
	v_add_nc_u32_e32 v12, v12, v33
	v_mov_b32_dpp v33, v12 row_shr:4 row_mask:0xf bank_mask:0xf
	s_delay_alu instid0(VALU_DEP_1) | instskip(NEXT) | instid1(VALU_DEP_1)
	v_cndmask_b32_e64 v33, 0, v33, s3
	v_add_nc_u32_e32 v12, v12, v33
	s_delay_alu instid0(VALU_DEP_1) | instskip(NEXT) | instid1(VALU_DEP_1)
	v_mov_b32_dpp v33, v12 row_shr:8 row_mask:0xf bank_mask:0xf
	v_cndmask_b32_e64 v33, 0, v33, s4
	s_delay_alu instid0(VALU_DEP_1) | instskip(SKIP_3) | instid1(VALU_DEP_1)
	v_add_nc_u32_e32 v12, v12, v33
	ds_swizzle_b32 v33, v12 offset:swizzle(BROADCAST,32,15)
	s_waitcnt lgkmcnt(0)
	v_cndmask_b32_e64 v33, v33, 0, s5
	v_add_nc_u32_e32 v12, v12, v33
	s_and_saveexec_b32 s11, s10
	s_cbranch_execz .LBB27_7
; %bb.6:                                ;   in Loop: Header=BB27_3 Depth=1
	ds_store_b32 v27, v12
.LBB27_7:                               ;   in Loop: Header=BB27_3 Depth=1
	s_or_b32 exec_lo, exec_lo, s11
	s_waitcnt lgkmcnt(0)
	s_barrier
	buffer_gl0_inv
	s_and_saveexec_b32 s11, s6
	s_cbranch_execz .LBB27_9
; %bb.8:                                ;   in Loop: Header=BB27_3 Depth=1
	ds_load_b32 v33, v31
	s_waitcnt lgkmcnt(0)
	v_mov_b32_dpp v34, v33 row_shr:1 row_mask:0xf bank_mask:0xf
	s_delay_alu instid0(VALU_DEP_1) | instskip(NEXT) | instid1(VALU_DEP_1)
	v_cndmask_b32_e64 v34, v34, 0, s9
	v_add_nc_u32_e32 v33, v34, v33
	ds_store_b32 v31, v33
.LBB27_9:                               ;   in Loop: Header=BB27_3 Depth=1
	s_or_b32 exec_lo, exec_lo, s11
	v_mov_b32_e32 v33, 0
	s_waitcnt lgkmcnt(0)
	s_barrier
	buffer_gl0_inv
	s_and_saveexec_b32 s11, s7
	s_cbranch_execz .LBB27_11
; %bb.10:                               ;   in Loop: Header=BB27_3 Depth=1
	ds_load_b32 v33, v28
.LBB27_11:                              ;   in Loop: Header=BB27_3 Depth=1
	s_or_b32 exec_lo, exec_lo, s11
	s_waitcnt lgkmcnt(0)
	v_add_nc_u32_e32 v12, v33, v12
	v_lshlrev_b32_e32 v0, 4, v0
	s_add_i32 s18, s18, 8
	s_delay_alu instid0(SALU_CYCLE_1) | instskip(SKIP_3) | instid1(VALU_DEP_1)
	s_cmp_ge_u32 s18, s19
	ds_bpermute_b32 v12, v26, v12
	s_waitcnt lgkmcnt(0)
	v_cndmask_b32_e64 v12, v12, v33, s0
	v_cndmask_b32_e64 v12, v12, 0, s8
	s_delay_alu instid0(VALU_DEP_1) | instskip(NEXT) | instid1(VALU_DEP_1)
	v_add_nc_u32_e32 v13, v12, v13
	v_add_nc_u32_e32 v14, v13, v14
	s_delay_alu instid0(VALU_DEP_1) | instskip(NEXT) | instid1(VALU_DEP_1)
	v_add_nc_u32_e32 v15, v14, v15
	v_add_nc_u32_e32 v33, v15, v16
	;; [unrolled: 3-line block ×3, first 2 shown]
	s_delay_alu instid0(VALU_DEP_1)
	v_add_nc_u32_e32 v10, v9, v11
	ds_store_2addr_b64 v24, v[12:13], v[14:15] offset0:1 offset1:2
	ds_store_2addr_b64 v25, v[33:34], v[9:10] offset0:2 offset1:3
	s_waitcnt lgkmcnt(0)
	s_barrier
	buffer_gl0_inv
	ds_load_b32 v9, v32
	s_waitcnt lgkmcnt(0)
	v_lshl_add_u32 v0, v9, 4, v0
	s_cbranch_scc0 .LBB27_2
; %bb.12:
                                        ; implicit-def: $vgpr9_vgpr10
                                        ; implicit-def: $sgpr12
.LBB27_13:
	s_mov_b32 s11, 0
	s_barrier
	buffer_gl0_inv
	ds_store_b128 v0, v[5:8]
	s_waitcnt lgkmcnt(0)
	s_barrier
.LBB27_14:
	s_and_b32 vcc_lo, exec_lo, s11
	s_cbranch_vccz .LBB27_28
; %bb.15:
	s_mov_b32 s12, 0
	s_delay_alu instid0(SALU_CYCLE_1)
	s_mov_b32 s13, s12
	s_mov_b32 s14, s12
	;; [unrolled: 1-line block ×3, first 2 shown]
	v_dual_mov_b32 v14, s13 :: v_dual_mov_b32 v13, s12
	v_dual_mov_b32 v16, s15 :: v_dual_mov_b32 v15, s14
	s_branch .LBB27_17
.LBB27_16:                              ;   in Loop: Header=BB27_17 Depth=1
	s_delay_alu instid0(VALU_DEP_1)
	v_lshlrev_b32_e32 v1, 4, v0
	s_barrier
	buffer_gl0_inv
	s_add_i32 s12, s12, 8
	ds_store_b128 v1, v[5:8]
	s_waitcnt lgkmcnt(0)
	s_barrier
	buffer_gl0_inv
	ds_load_b128 v[1:4], v29
	s_waitcnt lgkmcnt(0)
	s_barrier
	buffer_gl0_inv
	s_cbranch_execz .LBB27_27
.LBB27_17:                              ; =>This Inner Loop Header: Depth=1
	v_dual_mov_b32 v6, v2 :: v_dual_mov_b32 v5, v1
	v_dual_mov_b32 v8, v4 :: v_dual_mov_b32 v7, v3
	s_sub_i32 s11, 64, s12
	ds_store_2addr_b64 v24, v[13:14], v[15:16] offset0:1 offset1:2
	ds_store_2addr_b64 v25, v[13:14], v[15:16] offset0:2 offset1:3
	v_lshrrev_b64 v[0:1], s12, v[5:6]
	s_waitcnt lgkmcnt(0)
	v_lshlrev_b64 v[1:2], s11, v[7:8]
	s_sub_i32 s11, s12, 64
	s_cmp_lt_u32 s12, 64
	v_lshrrev_b64 v[2:3], s11, v[7:8]
	s_cselect_b32 vcc_lo, -1, 0
	s_cmp_eq_u32 s12, 0
	v_or_b32_e32 v0, v0, v1
	s_barrier
	buffer_gl0_inv
	; wave barrier
	v_cndmask_b32_e32 v0, v2, v0, vcc_lo
	s_cselect_b32 vcc_lo, -1, 0
	s_delay_alu instid0(VALU_DEP_1) | instskip(NEXT) | instid1(VALU_DEP_1)
	v_cndmask_b32_e32 v1, v0, v5, vcc_lo
	v_and_b32_e32 v0, 1, v1
	s_delay_alu instid0(VALU_DEP_1) | instskip(NEXT) | instid1(VALU_DEP_1)
	v_add_co_u32 v0, s11, v0, -1
	v_cndmask_b32_e64 v9, 0, 1, s11
	s_delay_alu instid0(VALU_DEP_1) | instskip(NEXT) | instid1(VALU_DEP_3)
	v_cmp_ne_u32_e32 vcc_lo, 0, v9
	v_xor_b32_e32 v0, vcc_lo, v0
	s_delay_alu instid0(VALU_DEP_1)
	v_and_b32_e32 v0, exec_lo, v0
	v_lshlrev_b32_e32 v2, 30, v1
	v_lshlrev_b32_e32 v3, 29, v1
	;; [unrolled: 1-line block ×5, first 2 shown]
	v_not_b32_e32 v19, v2
	v_cmp_gt_i32_e64 s11, 0, v2
	v_not_b32_e32 v2, v3
	v_cmp_gt_i32_e32 vcc_lo, 0, v3
	v_not_b32_e32 v3, v4
	v_ashrrev_i32_e32 v19, 31, v19
	v_lshlrev_b32_e32 v12, 25, v1
	v_ashrrev_i32_e32 v2, 31, v2
	v_lshlrev_b32_e32 v9, 24, v1
	v_ashrrev_i32_e32 v3, 31, v3
	v_xor_b32_e32 v19, s11, v19
	v_cmp_gt_i32_e64 s11, 0, v4
	v_not_b32_e32 v4, v10
	v_xor_b32_e32 v2, vcc_lo, v2
	v_cmp_gt_i32_e32 vcc_lo, 0, v10
	v_and_b32_e32 v0, v0, v19
	v_not_b32_e32 v10, v11
	v_ashrrev_i32_e32 v4, 31, v4
	v_xor_b32_e32 v3, s11, v3
	v_cmp_gt_i32_e64 s11, 0, v11
	v_and_b32_e32 v0, v0, v2
	v_not_b32_e32 v2, v12
	v_ashrrev_i32_e32 v10, 31, v10
	v_xor_b32_e32 v4, vcc_lo, v4
	v_cmp_gt_i32_e32 vcc_lo, 0, v12
	v_and_b32_e32 v0, v0, v3
	v_not_b32_e32 v3, v9
	v_ashrrev_i32_e32 v2, 31, v2
	v_xor_b32_e32 v10, s11, v10
	v_cmp_gt_i32_e64 s11, 0, v9
	v_and_b32_e32 v0, v0, v4
	v_ashrrev_i32_e32 v3, 31, v3
	v_xor_b32_e32 v2, vcc_lo, v2
	v_and_b32_e32 v1, 0xff, v1
	s_delay_alu instid0(VALU_DEP_4) | instskip(NEXT) | instid1(VALU_DEP_4)
	v_and_b32_e32 v0, v0, v10
	v_xor_b32_e32 v3, s11, v3
	s_delay_alu instid0(VALU_DEP_3) | instskip(NEXT) | instid1(VALU_DEP_3)
	v_lshl_add_u32 v1, v1, 1, v30
	v_and_b32_e32 v0, v0, v2
	s_delay_alu instid0(VALU_DEP_2) | instskip(NEXT) | instid1(VALU_DEP_2)
	v_lshl_add_u32 v19, v1, 2, 8
	v_and_b32_e32 v0, v0, v3
	s_delay_alu instid0(VALU_DEP_1) | instskip(SKIP_1) | instid1(VALU_DEP_2)
	v_mbcnt_lo_u32_b32 v4, v0, 0
	v_cmp_ne_u32_e64 s11, 0, v0
	v_cmp_eq_u32_e32 vcc_lo, 0, v4
	s_delay_alu instid0(VALU_DEP_2) | instskip(NEXT) | instid1(SALU_CYCLE_1)
	s_and_b32 s13, s11, vcc_lo
	s_and_saveexec_b32 s11, s13
	s_cbranch_execz .LBB27_19
; %bb.18:                               ;   in Loop: Header=BB27_17 Depth=1
	v_bcnt_u32_b32 v0, v0, 0
	ds_store_b32 v19, v0
.LBB27_19:                              ;   in Loop: Header=BB27_17 Depth=1
	s_or_b32 exec_lo, exec_lo, s11
	; wave barrier
	s_waitcnt lgkmcnt(0)
	s_barrier
	buffer_gl0_inv
	ds_load_2addr_b64 v[9:12], v24 offset0:1 offset1:2
	ds_load_2addr_b64 v[0:3], v25 offset0:2 offset1:3
	s_waitcnt lgkmcnt(1)
	v_add_nc_u32_e32 v20, v10, v9
	s_delay_alu instid0(VALU_DEP_1) | instskip(SKIP_1) | instid1(VALU_DEP_1)
	v_add3_u32 v20, v20, v11, v12
	s_waitcnt lgkmcnt(0)
	v_add3_u32 v20, v20, v0, v1
	s_delay_alu instid0(VALU_DEP_1) | instskip(NEXT) | instid1(VALU_DEP_1)
	v_add3_u32 v3, v20, v2, v3
	v_mov_b32_dpp v20, v3 row_shr:1 row_mask:0xf bank_mask:0xf
	s_delay_alu instid0(VALU_DEP_1) | instskip(NEXT) | instid1(VALU_DEP_1)
	v_cndmask_b32_e64 v20, v20, 0, s1
	v_add_nc_u32_e32 v3, v20, v3
	s_delay_alu instid0(VALU_DEP_1) | instskip(NEXT) | instid1(VALU_DEP_1)
	v_mov_b32_dpp v20, v3 row_shr:2 row_mask:0xf bank_mask:0xf
	v_cndmask_b32_e64 v20, 0, v20, s2
	s_delay_alu instid0(VALU_DEP_1) | instskip(NEXT) | instid1(VALU_DEP_1)
	v_add_nc_u32_e32 v3, v3, v20
	v_mov_b32_dpp v20, v3 row_shr:4 row_mask:0xf bank_mask:0xf
	s_delay_alu instid0(VALU_DEP_1) | instskip(NEXT) | instid1(VALU_DEP_1)
	v_cndmask_b32_e64 v20, 0, v20, s3
	v_add_nc_u32_e32 v3, v3, v20
	s_delay_alu instid0(VALU_DEP_1) | instskip(NEXT) | instid1(VALU_DEP_1)
	v_mov_b32_dpp v20, v3 row_shr:8 row_mask:0xf bank_mask:0xf
	v_cndmask_b32_e64 v20, 0, v20, s4
	s_delay_alu instid0(VALU_DEP_1) | instskip(SKIP_3) | instid1(VALU_DEP_1)
	v_add_nc_u32_e32 v3, v3, v20
	ds_swizzle_b32 v20, v3 offset:swizzle(BROADCAST,32,15)
	s_waitcnt lgkmcnt(0)
	v_cndmask_b32_e64 v20, v20, 0, s5
	v_add_nc_u32_e32 v3, v3, v20
	s_and_saveexec_b32 s11, s10
	s_cbranch_execz .LBB27_21
; %bb.20:                               ;   in Loop: Header=BB27_17 Depth=1
	ds_store_b32 v27, v3
.LBB27_21:                              ;   in Loop: Header=BB27_17 Depth=1
	s_or_b32 exec_lo, exec_lo, s11
	s_waitcnt lgkmcnt(0)
	s_barrier
	buffer_gl0_inv
	s_and_saveexec_b32 s11, s6
	s_cbranch_execz .LBB27_23
; %bb.22:                               ;   in Loop: Header=BB27_17 Depth=1
	ds_load_b32 v20, v31
	s_waitcnt lgkmcnt(0)
	v_mov_b32_dpp v21, v20 row_shr:1 row_mask:0xf bank_mask:0xf
	s_delay_alu instid0(VALU_DEP_1) | instskip(NEXT) | instid1(VALU_DEP_1)
	v_cndmask_b32_e64 v21, v21, 0, s9
	v_add_nc_u32_e32 v20, v21, v20
	ds_store_b32 v31, v20
.LBB27_23:                              ;   in Loop: Header=BB27_17 Depth=1
	s_or_b32 exec_lo, exec_lo, s11
	v_mov_b32_e32 v20, 0
	s_waitcnt lgkmcnt(0)
	s_barrier
	buffer_gl0_inv
	s_and_saveexec_b32 s11, s7
	s_cbranch_execz .LBB27_25
; %bb.24:                               ;   in Loop: Header=BB27_17 Depth=1
	ds_load_b32 v20, v28
.LBB27_25:                              ;   in Loop: Header=BB27_17 Depth=1
	s_or_b32 exec_lo, exec_lo, s11
	s_waitcnt lgkmcnt(0)
	v_add_nc_u32_e32 v3, v20, v3
	s_cmpk_gt_u32 s12, 0x77
	ds_bpermute_b32 v3, v26, v3
	s_waitcnt lgkmcnt(0)
	v_cndmask_b32_e64 v3, v3, v20, s0
	s_delay_alu instid0(VALU_DEP_1) | instskip(NEXT) | instid1(VALU_DEP_1)
	v_cndmask_b32_e64 v20, v3, 0, s8
	v_add_nc_u32_e32 v21, v20, v9
	s_delay_alu instid0(VALU_DEP_1) | instskip(NEXT) | instid1(VALU_DEP_1)
	v_add_nc_u32_e32 v9, v21, v10
	v_add_nc_u32_e32 v10, v9, v11
	s_delay_alu instid0(VALU_DEP_1) | instskip(NEXT) | instid1(VALU_DEP_1)
	v_add_nc_u32_e32 v11, v10, v12
	;; [unrolled: 3-line block ×3, first 2 shown]
	v_add_nc_u32_e32 v1, v0, v2
	ds_store_2addr_b64 v24, v[20:21], v[9:10] offset0:1 offset1:2
	ds_store_2addr_b64 v25, v[11:12], v[0:1] offset0:2 offset1:3
	s_waitcnt lgkmcnt(0)
	s_barrier
	buffer_gl0_inv
	ds_load_b32 v0, v19
	s_waitcnt lgkmcnt(0)
	v_add_nc_u32_e32 v0, v0, v4
	s_cbranch_scc0 .LBB27_16
; %bb.26:
                                        ; implicit-def: $sgpr12
                                        ; implicit-def: $vgpr1_vgpr2
.LBB27_27:
	s_delay_alu instid0(VALU_DEP_1)
	v_lshlrev_b32_e32 v0, 4, v0
	s_barrier
	buffer_gl0_inv
	ds_store_b128 v0, v[5:8]
	s_waitcnt lgkmcnt(0)
	s_barrier
.LBB27_28:
	buffer_gl0_inv
	ds_load_b128 v[0:3], v23
	s_waitcnt lgkmcnt(0)
	v_xor_b32_e32 v3, 0x80000000, v3
	global_store_b128 v[17:18], v[0:3], off
	s_nop 0
	s_sendmsg sendmsg(MSG_DEALLOC_VGPRS)
	s_endpgm
	.section	.rodata,"a",@progbits
	.p2align	6, 0x0
	.amdhsa_kernel _Z15sort_key_kernelILj64ELj1ELb0ELb0EnEvPT3_jj
		.amdhsa_group_segment_fixed_size 2064
		.amdhsa_private_segment_fixed_size 0
		.amdhsa_kernarg_size 272
		.amdhsa_user_sgpr_count 15
		.amdhsa_user_sgpr_dispatch_ptr 0
		.amdhsa_user_sgpr_queue_ptr 0
		.amdhsa_user_sgpr_kernarg_segment_ptr 1
		.amdhsa_user_sgpr_dispatch_id 0
		.amdhsa_user_sgpr_private_segment_size 0
		.amdhsa_wavefront_size32 1
		.amdhsa_uses_dynamic_stack 0
		.amdhsa_enable_private_segment 0
		.amdhsa_system_sgpr_workgroup_id_x 1
		.amdhsa_system_sgpr_workgroup_id_y 0
		.amdhsa_system_sgpr_workgroup_id_z 0
		.amdhsa_system_sgpr_workgroup_info 0
		.amdhsa_system_vgpr_workitem_id 2
		.amdhsa_next_free_vgpr 35
		.amdhsa_next_free_sgpr 20
		.amdhsa_reserve_vcc 1
		.amdhsa_float_round_mode_32 0
		.amdhsa_float_round_mode_16_64 0
		.amdhsa_float_denorm_mode_32 3
		.amdhsa_float_denorm_mode_16_64 3
		.amdhsa_dx10_clamp 1
		.amdhsa_ieee_mode 1
		.amdhsa_fp16_overflow 0
		.amdhsa_workgroup_processor_mode 1
		.amdhsa_memory_ordered 1
		.amdhsa_forward_progress 0
		.amdhsa_shared_vgpr_count 0
		.amdhsa_exception_fp_ieee_invalid_op 0
		.amdhsa_exception_fp_denorm_src 0
		.amdhsa_exception_fp_ieee_div_zero 0
		.amdhsa_exception_fp_ieee_overflow 0
		.amdhsa_exception_fp_ieee_underflow 0
		.amdhsa_exception_fp_ieee_inexact 0
		.amdhsa_exception_int_div_zero 0
	.end_amdhsa_kernel
	.section	.text._Z15sort_key_kernelILj64ELj1ELb0ELb0EnEvPT3_jj,"axG",@progbits,_Z15sort_key_kernelILj64ELj1ELb0ELb0EnEvPT3_jj,comdat
.Lfunc_end27:
	.size	_Z15sort_key_kernelILj64ELj1ELb0ELb0EnEvPT3_jj, .Lfunc_end27-_Z15sort_key_kernelILj64ELj1ELb0ELb0EnEvPT3_jj
                                        ; -- End function
	.section	.AMDGPU.csdata,"",@progbits
; Kernel info:
; codeLenInByte = 2536
; NumSgprs: 22
; NumVgprs: 35
; ScratchSize: 0
; MemoryBound: 0
; FloatMode: 240
; IeeeMode: 1
; LDSByteSize: 2064 bytes/workgroup (compile time only)
; SGPRBlocks: 2
; VGPRBlocks: 4
; NumSGPRsForWavesPerEU: 22
; NumVGPRsForWavesPerEU: 35
; Occupancy: 16
; WaveLimiterHint : 0
; COMPUTE_PGM_RSRC2:SCRATCH_EN: 0
; COMPUTE_PGM_RSRC2:USER_SGPR: 15
; COMPUTE_PGM_RSRC2:TRAP_HANDLER: 0
; COMPUTE_PGM_RSRC2:TGID_X_EN: 1
; COMPUTE_PGM_RSRC2:TGID_Y_EN: 0
; COMPUTE_PGM_RSRC2:TGID_Z_EN: 0
; COMPUTE_PGM_RSRC2:TIDIG_COMP_CNT: 2
	.section	.text._Z21sort_key_value_kernelILj255ELj1ELb1ELb0EN10test_utils16custom_test_typeIhEEfEvPT3_PT4_jj,"axG",@progbits,_Z21sort_key_value_kernelILj255ELj1ELb1ELb0EN10test_utils16custom_test_typeIhEEfEvPT3_PT4_jj,comdat
	.protected	_Z21sort_key_value_kernelILj255ELj1ELb1ELb0EN10test_utils16custom_test_typeIhEEfEvPT3_PT4_jj ; -- Begin function _Z21sort_key_value_kernelILj255ELj1ELb1ELb0EN10test_utils16custom_test_typeIhEEfEvPT3_PT4_jj
	.globl	_Z21sort_key_value_kernelILj255ELj1ELb1ELb0EN10test_utils16custom_test_typeIhEEfEvPT3_PT4_jj
	.p2align	8
	.type	_Z21sort_key_value_kernelILj255ELj1ELb1ELb0EN10test_utils16custom_test_typeIhEEfEvPT3_PT4_jj,@function
_Z21sort_key_value_kernelILj255ELj1ELb1ELb0EN10test_utils16custom_test_typeIhEEfEvPT3_PT4_jj: ; @_Z21sort_key_value_kernelILj255ELj1ELb1ELb0EN10test_utils16custom_test_typeIhEEfEvPT3_PT4_jj
; %bb.0:
	s_clause 0x1
	s_load_b128 s[4:7], s[0:1], 0x0
	s_load_b64 s[20:21], s[0:1], 0x10
	s_mov_b32 s3, 0
	s_mul_i32 s2, s15, 0xff
	v_lshlrev_b32_e32 v16, 1, v0
	s_lshl_b64 s[8:9], s[2:3], 1
	v_lshlrev_b32_e32 v14, 2, v0
	v_mbcnt_lo_u32_b32 v21, -1, 0
	v_lshlrev_b32_e32 v13, 5, v0
	v_and_b32_e32 v18, 0xe0, v0
	v_lshrrev_b32_e32 v22, 3, v0
	s_waitcnt lgkmcnt(0)
	s_add_u32 s16, s4, s8
	s_addc_u32 s17, s5, s9
	s_lshl_b64 s[0:1], s[2:3], 2
	global_load_u16 v19, v16, s[16:17]
	s_add_u32 s18, s6, s0
	s_addc_u32 s19, s7, s1
	s_cmp_lg_u32 s20, 0
	global_load_b32 v17, v14, s[18:19]
	s_cselect_b32 s2, -1, 0
	s_cmp_lg_u32 s21, 16
	v_cmp_gt_u32_e64 s0, 8, v0
	s_cselect_b32 s3, -1, 0
	v_cmp_lt_u32_e64 s1, 31, v0
	s_or_b32 s3, s2, s3
	v_cmp_gt_u32_e64 s2, 0x3fc, v0
	s_and_b32 vcc_lo, exec_lo, s3
	v_cmp_gt_u32_e64 s3, 0x2fd, v0
	s_waitcnt vmcnt(1)
	v_lshrrev_b16 v20, 8, v19
	s_cbranch_vccz .LBB28_21
; %bb.1:
	v_add_nc_u32_e32 v3, -1, v21
	v_dual_mov_b32 v15, 0 :: v_dual_and_b32 v4, 16, v21
	s_delay_alu instid0(VALU_DEP_3) | instskip(SKIP_1) | instid1(VALU_DEP_3)
	v_dual_mov_b32 v24, v20 :: v_dual_and_b32 v1, 15, v21
	v_min_u32_e32 v2, 0xdf, v18
	v_cmp_eq_u32_e64 s8, 0, v4
	s_waitcnt vmcnt(0)
	v_mov_b32_e32 v4, v17
	v_cmp_gt_i32_e32 vcc_lo, 0, v3
	v_cmp_eq_u32_e64 s4, 0, v1
	v_cmp_lt_u32_e64 s5, 1, v1
	v_cmp_lt_u32_e64 s6, 3, v1
	v_dual_cndmask_b32 v3, v3, v21 :: v_dual_add_nc_u32 v2, 31, v2
	v_cmp_lt_u32_e64 s7, 7, v1
	v_and_b32_e32 v1, 7, v21
	v_cmp_eq_u32_e64 s10, 0, v21
	s_delay_alu instid0(VALU_DEP_4)
	v_cmp_eq_u32_e64 s9, v2, v0
	v_lshlrev_b32_e32 v10, 2, v3
	v_and_b32_e32 v11, 28, v22
	v_cmp_eq_u32_e64 s11, 0, v1
	v_cmp_lt_u32_e64 s12, 1, v1
	v_cmp_lt_u32_e64 s13, 3, v1
	v_mov_b32_e32 v1, v19
	v_sub_nc_u32_e32 v9, v14, v16
	v_cmp_gt_u32_e64 s14, 0x1fe, v0
	v_cmp_gt_u32_e64 s15, 0xff, v0
	v_add_nc_u32_e32 v23, 0x7f8, v14
	s_sub_i32 s22, 0, s20
	s_sub_i32 s23, s21, s20
	s_branch .LBB28_3
.LBB28_2:                               ;   in Loop: Header=BB28_3 Depth=1
	s_barrier
	buffer_gl0_inv
	ds_store_b16 v2, v3
	s_waitcnt lgkmcnt(0)
	s_barrier
	buffer_gl0_inv
	v_add_nc_u32_e32 v4, v2, v2
	ds_load_u16 v1, v9
	s_waitcnt lgkmcnt(0)
	s_barrier
	buffer_gl0_inv
	ds_store_b32 v4, v12
	s_waitcnt lgkmcnt(0)
	s_barrier
	buffer_gl0_inv
	ds_load_b32 v4, v14
	s_add_i32 s22, s22, -4
	s_add_i32 s23, s23, -4
	s_waitcnt lgkmcnt(0)
	s_barrier
	buffer_gl0_inv
	v_lshrrev_b16 v24, 8, v1
	s_cbranch_execz .LBB28_20
.LBB28_3:                               ; =>This Inner Loop Header: Depth=1
	v_mov_b32_e32 v12, v4
	ds_store_2addr_b32 v14, v15, v15 offset1:255
	ds_store_2addr_b32 v23, v15, v15 offset1:255
	s_and_saveexec_b32 s24, s2
	s_cbranch_execz .LBB28_8
; %bb.4:                                ;   in Loop: Header=BB28_3 Depth=1
	ds_store_b32 v14, v15 offset:4080
	s_and_b32 exec_lo, exec_lo, s3
	s_cbranch_execz .LBB28_8
; %bb.5:                                ;   in Loop: Header=BB28_3 Depth=1
	ds_store_b32 v14, v15 offset:5100
	s_and_b32 exec_lo, exec_lo, s14
	;; [unrolled: 4-line block ×3, first 2 shown]
	s_cbranch_execz .LBB28_8
; %bb.7:                                ;   in Loop: Header=BB28_3 Depth=1
	ds_store_b32 v14, v15 offset:7140
.LBB28_8:                               ;   in Loop: Header=BB28_3 Depth=1
	s_or_b32 exec_lo, exec_lo, s24
	s_min_u32 s24, s23, 4
	v_mov_b32_e32 v2, 0
	s_add_i32 s24, s24, s20
	s_cmp_gt_i32 s20, 7
	s_cselect_b32 s25, -1, 0
	s_cmp_lt_i32 s24, 1
	s_cselect_b32 s26, -1, 0
	s_delay_alu instid0(SALU_CYCLE_1) | instskip(NEXT) | instid1(SALU_CYCLE_1)
	s_or_b32 s25, s25, s26
	s_and_b32 vcc_lo, exec_lo, s25
	s_cbranch_vccnz .LBB28_10
; %bb.9:                                ;   in Loop: Header=BB28_3 Depth=1
	s_max_i32 s25, s20, 0
	s_max_i32 s26, s22, 0
	s_add_i32 s27, s25, s22
	v_and_b32_e32 v2, 0xff, v24
	s_sub_i32 s27, s27, s26
	s_delay_alu instid0(SALU_CYCLE_1) | instskip(NEXT) | instid1(VALU_DEP_1)
	s_add_i32 s27, s27, s24
	v_lshrrev_b32_e32 v2, s25, v2
	s_min_i32 s27, s27, 8
	s_delay_alu instid0(SALU_CYCLE_1)
	s_sub_i32 s25, s27, s25
	s_delay_alu instid0(VALU_DEP_1) | instid1(SALU_CYCLE_1)
	v_bfe_u32 v2, v2, 0, s25
	s_delay_alu instid0(VALU_DEP_1)
	v_lshlrev_b32_e32 v2, s26, v2
.LBB28_10:                              ;   in Loop: Header=BB28_3 Depth=1
	s_cmp_gt_i32 s20, 15
	v_and_b32_e32 v25, 0xff, v1
	s_cselect_b32 s25, -1, 0
	s_cmp_lt_i32 s24, 9
	s_cselect_b32 s24, -1, 0
	s_delay_alu instid0(SALU_CYCLE_1) | instskip(NEXT) | instid1(SALU_CYCLE_1)
	s_or_b32 s24, s25, s24
	s_and_b32 vcc_lo, exec_lo, s24
	s_cbranch_vccnz .LBB28_12
; %bb.11:                               ;   in Loop: Header=BB28_3 Depth=1
	s_add_i32 s24, s21, s22
	s_max_i32 s25, s20, 8
	s_min_u32 s24, s24, 4
	s_add_i32 s26, s22, 8
	s_add_i32 s25, s25, -8
	s_max_i32 s26, s26, 0
	s_add_i32 s24, s25, s24
	v_lshrrev_b32_e32 v1, s25, v25
	s_sub_i32 s24, s24, s26
	s_delay_alu instid0(SALU_CYCLE_1) | instskip(NEXT) | instid1(SALU_CYCLE_1)
	s_min_i32 s24, s24, 8
	s_sub_i32 s24, s24, s25
	s_delay_alu instid0(VALU_DEP_1) | instid1(SALU_CYCLE_1)
	v_bfe_u32 v1, v1, 0, s24
	s_delay_alu instid0(VALU_DEP_1)
	v_lshl_or_b32 v2, v1, s26, v2
.LBB28_12:                              ;   in Loop: Header=BB28_3 Depth=1
	s_delay_alu instid0(VALU_DEP_1) | instskip(SKIP_1) | instid1(VALU_DEP_2)
	v_and_b32_e32 v1, 7, v2
	v_lshrrev_b32_e32 v2, 3, v2
	v_mul_u32_u24_e32 v1, 0xff, v1
	s_delay_alu instid0(VALU_DEP_1) | instskip(NEXT) | instid1(VALU_DEP_1)
	v_add_lshl_u32 v1, v1, v0, 1
	v_add_lshl_u32 v27, v1, v2, 1
	ds_load_u16 v26, v27
	s_waitcnt lgkmcnt(0)
	v_add_nc_u16 v1, v26, 1
	ds_store_b16 v27, v1
	s_waitcnt lgkmcnt(0)
	s_barrier
	buffer_gl0_inv
	ds_load_2addr_b64 v[5:8], v13 offset1:1
	ds_load_2addr_b64 v[1:4], v13 offset0:2 offset1:3
	s_waitcnt lgkmcnt(1)
	v_add_nc_u32_e32 v28, v6, v5
	s_delay_alu instid0(VALU_DEP_1) | instskip(SKIP_1) | instid1(VALU_DEP_1)
	v_add3_u32 v28, v28, v7, v8
	s_waitcnt lgkmcnt(0)
	v_add3_u32 v28, v28, v1, v2
	s_delay_alu instid0(VALU_DEP_1) | instskip(NEXT) | instid1(VALU_DEP_1)
	v_add3_u32 v4, v28, v3, v4
	v_mov_b32_dpp v28, v4 row_shr:1 row_mask:0xf bank_mask:0xf
	s_delay_alu instid0(VALU_DEP_1) | instskip(NEXT) | instid1(VALU_DEP_1)
	v_cndmask_b32_e64 v28, v28, 0, s4
	v_add_nc_u32_e32 v4, v28, v4
	s_delay_alu instid0(VALU_DEP_1) | instskip(NEXT) | instid1(VALU_DEP_1)
	v_mov_b32_dpp v28, v4 row_shr:2 row_mask:0xf bank_mask:0xf
	v_cndmask_b32_e64 v28, 0, v28, s5
	s_delay_alu instid0(VALU_DEP_1) | instskip(NEXT) | instid1(VALU_DEP_1)
	v_add_nc_u32_e32 v4, v4, v28
	v_mov_b32_dpp v28, v4 row_shr:4 row_mask:0xf bank_mask:0xf
	s_delay_alu instid0(VALU_DEP_1) | instskip(NEXT) | instid1(VALU_DEP_1)
	v_cndmask_b32_e64 v28, 0, v28, s6
	v_add_nc_u32_e32 v4, v4, v28
	s_delay_alu instid0(VALU_DEP_1) | instskip(NEXT) | instid1(VALU_DEP_1)
	v_mov_b32_dpp v28, v4 row_shr:8 row_mask:0xf bank_mask:0xf
	v_cndmask_b32_e64 v28, 0, v28, s7
	s_delay_alu instid0(VALU_DEP_1) | instskip(SKIP_3) | instid1(VALU_DEP_1)
	v_add_nc_u32_e32 v4, v4, v28
	ds_swizzle_b32 v28, v4 offset:swizzle(BROADCAST,32,15)
	s_waitcnt lgkmcnt(0)
	v_cndmask_b32_e64 v28, v28, 0, s8
	v_add_nc_u32_e32 v4, v4, v28
	s_and_saveexec_b32 s24, s9
	s_cbranch_execz .LBB28_14
; %bb.13:                               ;   in Loop: Header=BB28_3 Depth=1
	ds_store_b32 v11, v4 offset:8160
.LBB28_14:                              ;   in Loop: Header=BB28_3 Depth=1
	s_or_b32 exec_lo, exec_lo, s24
	s_waitcnt lgkmcnt(0)
	s_barrier
	buffer_gl0_inv
	s_and_saveexec_b32 s24, s0
	s_cbranch_execz .LBB28_16
; %bb.15:                               ;   in Loop: Header=BB28_3 Depth=1
	ds_load_b32 v28, v14 offset:8160
	s_waitcnt lgkmcnt(0)
	v_mov_b32_dpp v29, v28 row_shr:1 row_mask:0xf bank_mask:0xf
	s_delay_alu instid0(VALU_DEP_1) | instskip(NEXT) | instid1(VALU_DEP_1)
	v_cndmask_b32_e64 v29, v29, 0, s11
	v_add_nc_u32_e32 v28, v29, v28
	s_delay_alu instid0(VALU_DEP_1) | instskip(NEXT) | instid1(VALU_DEP_1)
	v_mov_b32_dpp v29, v28 row_shr:2 row_mask:0xf bank_mask:0xf
	v_cndmask_b32_e64 v29, 0, v29, s12
	s_delay_alu instid0(VALU_DEP_1) | instskip(NEXT) | instid1(VALU_DEP_1)
	v_add_nc_u32_e32 v28, v28, v29
	v_mov_b32_dpp v29, v28 row_shr:4 row_mask:0xf bank_mask:0xf
	s_delay_alu instid0(VALU_DEP_1) | instskip(NEXT) | instid1(VALU_DEP_1)
	v_cndmask_b32_e64 v29, 0, v29, s13
	v_add_nc_u32_e32 v28, v28, v29
	ds_store_b32 v14, v28 offset:8160
.LBB28_16:                              ;   in Loop: Header=BB28_3 Depth=1
	s_or_b32 exec_lo, exec_lo, s24
	v_mov_b32_e32 v28, 0
	s_waitcnt lgkmcnt(0)
	s_barrier
	buffer_gl0_inv
	s_and_saveexec_b32 s24, s1
	s_cbranch_execz .LBB28_18
; %bb.17:                               ;   in Loop: Header=BB28_3 Depth=1
	ds_load_b32 v28, v11 offset:8156
.LBB28_18:                              ;   in Loop: Header=BB28_3 Depth=1
	s_or_b32 exec_lo, exec_lo, s24
	s_waitcnt lgkmcnt(0)
	v_add_nc_u32_e32 v4, v28, v4
	ds_load_b32 v29, v15 offset:8188
	s_add_i32 s20, s20, 4
	s_delay_alu instid0(SALU_CYCLE_1) | instskip(SKIP_3) | instid1(VALU_DEP_1)
	s_cmp_ge_u32 s20, s21
	ds_bpermute_b32 v4, v10, v4
	s_waitcnt lgkmcnt(0)
	v_cndmask_b32_e64 v4, v4, v28, s10
	v_lshl_add_u32 v4, v29, 16, v4
	s_delay_alu instid0(VALU_DEP_1) | instskip(NEXT) | instid1(VALU_DEP_1)
	v_add_nc_u32_e32 v5, v4, v5
	v_add_nc_u32_e32 v6, v5, v6
	s_delay_alu instid0(VALU_DEP_1) | instskip(NEXT) | instid1(VALU_DEP_1)
	v_add_nc_u32_e32 v7, v6, v7
	v_add_nc_u32_e32 v28, v7, v8
	;; [unrolled: 3-line block ×3, first 2 shown]
	s_delay_alu instid0(VALU_DEP_1)
	v_add_nc_u32_e32 v2, v1, v3
	ds_store_2addr_b64 v13, v[4:5], v[6:7] offset1:1
	ds_store_2addr_b64 v13, v[28:29], v[1:2] offset0:2 offset1:3
	s_waitcnt lgkmcnt(0)
	s_barrier
	buffer_gl0_inv
	ds_load_u16 v1, v27
	v_lshlrev_b16 v2, 8, v24
	v_and_b32_e32 v4, 0xffff, v26
	s_waitcnt lgkmcnt(0)
	s_delay_alu instid0(VALU_DEP_2) | instskip(NEXT) | instid1(VALU_DEP_2)
	v_or_b32_e32 v3, v2, v25
	v_add_lshl_u32 v2, v1, v4, 1
	s_cbranch_scc0 .LBB28_2
; %bb.19:
                                        ; implicit-def: $vgpr4
                                        ; implicit-def: $vgpr1
                                        ; implicit-def: $vgpr24
                                        ; implicit-def: $sgpr22
                                        ; implicit-def: $sgpr23
.LBB28_20:
	s_barrier
	buffer_gl0_inv
	ds_store_b16 v2, v3
	s_waitcnt lgkmcnt(0)
	s_barrier
	buffer_gl0_inv
	ds_load_u16 v1, v9
	v_add_nc_u32_e32 v3, v2, v2
	s_mov_b32 s0, 0
	s_waitcnt lgkmcnt(0)
	s_barrier
	buffer_gl0_inv
	ds_store_b32 v3, v12
	s_waitcnt lgkmcnt(0)
	s_barrier
	v_lshrrev_b16 v2, 8, v1
	s_branch .LBB28_22
.LBB28_21:
	s_mov_b32 s0, -1
                                        ; implicit-def: $vgpr1
                                        ; implicit-def: $vgpr2
.LBB28_22:
	v_add_co_u32 v9, s1, s16, v16
	s_delay_alu instid0(VALU_DEP_1) | instskip(SKIP_1) | instid1(VALU_DEP_1)
	v_add_co_ci_u32_e64 v10, null, s17, 0, s1
	v_add_co_u32 v11, s1, s18, v14
	v_add_co_ci_u32_e64 v12, null, s19, 0, s1
	v_mov_b32_e32 v15, v14
	s_and_b32 vcc_lo, exec_lo, s0
	s_cbranch_vccz .LBB28_68
; %bb.23:
	v_mad_i32_i24 v15, 0xffffffe4, v0, v13
	v_mov_b32_e32 v1, 0
	v_cmp_gt_u32_e32 vcc_lo, 0x3fc, v0
	s_delay_alu instid0(VALU_DEP_3)
	v_add_nc_u32_e32 v2, 0x7f8, v15
	ds_store_2addr_b32 v15, v1, v1 offset1:255
	ds_store_2addr_b32 v2, v1, v1 offset1:255
	s_and_saveexec_b32 s1, vcc_lo
	s_cbranch_execz .LBB28_28
; %bb.24:
	v_cmp_gt_u32_e64 s0, 0x2fd, v0
	ds_store_b32 v15, v1 offset:4080
	s_and_b32 exec_lo, exec_lo, s0
	s_cbranch_execz .LBB28_28
; %bb.25:
	v_mov_b32_e32 v1, 0
	v_cmp_gt_u32_e64 s0, 0x1fe, v0
	ds_store_b32 v15, v1 offset:5100
	s_and_b32 exec_lo, exec_lo, s0
	s_cbranch_execz .LBB28_28
; %bb.26:
	v_cmp_gt_u32_e64 s0, 0xff, v0
	ds_store_b32 v15, v1 offset:6120
	s_and_b32 exec_lo, exec_lo, s0
	s_cbranch_execz .LBB28_28
; %bb.27:
	v_mov_b32_e32 v1, 0
	ds_store_b32 v15, v1 offset:7140
.LBB28_28:
	s_or_b32 exec_lo, exec_lo, s1
	v_and_b32_e32 v1, 15, v20
	v_min_u32_e32 v18, 0xdf, v18
	v_and_b32_e32 v27, 16, v21
	s_delay_alu instid0(VALU_DEP_3) | instskip(NEXT) | instid1(VALU_DEP_3)
	v_and_b32_e32 v1, 0xffff, v1
	v_add_nc_u32_e32 v18, 31, v18
	s_delay_alu instid0(VALU_DEP_3) | instskip(NEXT) | instid1(VALU_DEP_3)
	v_cmp_eq_u32_e64 s9, 0, v27
	v_and_b32_e32 v2, 7, v1
	v_lshrrev_b32_e32 v1, 2, v1
	s_delay_alu instid0(VALU_DEP_4) | instskip(SKIP_1) | instid1(VALU_DEP_4)
	v_cmp_eq_u32_e64 s7, v18, v0
	v_and_b32_e32 v18, 28, v22
	v_mad_u32_u24 v2, 0xff, v2, v0
	s_delay_alu instid0(VALU_DEP_4) | instskip(NEXT) | instid1(VALU_DEP_1)
	v_and_b32_e32 v1, 2, v1
	v_lshl_or_b32 v24, v2, 2, v1
	ds_load_u16 v23, v24
	s_waitcnt lgkmcnt(0)
	v_add_nc_u16 v1, v23, 1
	ds_store_b16 v24, v1
	s_waitcnt vmcnt(0) lgkmcnt(0)
	s_barrier
	buffer_gl0_inv
	ds_load_2addr_b64 v[5:8], v13 offset1:1
	ds_load_2addr_b64 v[1:4], v13 offset0:2 offset1:3
	s_waitcnt lgkmcnt(1)
	v_add_nc_u32_e32 v25, v6, v5
	s_delay_alu instid0(VALU_DEP_1) | instskip(SKIP_1) | instid1(VALU_DEP_1)
	v_add3_u32 v25, v25, v7, v8
	s_waitcnt lgkmcnt(0)
	v_add3_u32 v25, v25, v1, v2
	s_delay_alu instid0(VALU_DEP_1) | instskip(SKIP_1) | instid1(VALU_DEP_2)
	v_add3_u32 v4, v25, v3, v4
	v_and_b32_e32 v25, 15, v21
	v_mov_b32_dpp v26, v4 row_shr:1 row_mask:0xf bank_mask:0xf
	s_delay_alu instid0(VALU_DEP_2) | instskip(SKIP_3) | instid1(VALU_DEP_4)
	v_cmp_eq_u32_e64 s2, 0, v25
	v_cmp_lt_u32_e64 s3, 1, v25
	v_cmp_lt_u32_e64 s4, 3, v25
	;; [unrolled: 1-line block ×3, first 2 shown]
	v_cndmask_b32_e64 v26, v26, 0, s2
	s_delay_alu instid0(VALU_DEP_1) | instskip(NEXT) | instid1(VALU_DEP_1)
	v_add_nc_u32_e32 v4, v26, v4
	v_mov_b32_dpp v26, v4 row_shr:2 row_mask:0xf bank_mask:0xf
	s_delay_alu instid0(VALU_DEP_1) | instskip(NEXT) | instid1(VALU_DEP_1)
	v_cndmask_b32_e64 v26, 0, v26, s3
	v_add_nc_u32_e32 v4, v4, v26
	s_delay_alu instid0(VALU_DEP_1) | instskip(NEXT) | instid1(VALU_DEP_1)
	v_mov_b32_dpp v26, v4 row_shr:4 row_mask:0xf bank_mask:0xf
	v_cndmask_b32_e64 v26, 0, v26, s4
	s_delay_alu instid0(VALU_DEP_1) | instskip(NEXT) | instid1(VALU_DEP_1)
	v_add_nc_u32_e32 v4, v4, v26
	v_mov_b32_dpp v26, v4 row_shr:8 row_mask:0xf bank_mask:0xf
	s_delay_alu instid0(VALU_DEP_1) | instskip(SKIP_1) | instid1(VALU_DEP_2)
	v_cndmask_b32_e64 v25, 0, v26, s5
	v_bfe_i32 v26, v21, 4, 1
	v_add_nc_u32_e32 v4, v4, v25
	ds_swizzle_b32 v25, v4 offset:swizzle(BROADCAST,32,15)
	s_waitcnt lgkmcnt(0)
	v_and_b32_e32 v25, v26, v25
	s_delay_alu instid0(VALU_DEP_1)
	v_add_nc_u32_e32 v22, v4, v25
	s_and_saveexec_b32 s0, s7
	s_cbranch_execz .LBB28_30
; %bb.29:
	ds_store_b32 v18, v22 offset:8160
.LBB28_30:
	s_or_b32 exec_lo, exec_lo, s0
	v_and_b32_e32 v4, 7, v21
	v_cmp_gt_u32_e64 s8, 8, v0
	s_waitcnt lgkmcnt(0)
	s_barrier
	buffer_gl0_inv
	v_cmp_lt_u32_e64 s0, 1, v4
	v_cmp_eq_u32_e64 s6, 0, v4
	v_cmp_lt_u32_e64 s1, 3, v4
	s_and_saveexec_b32 s10, s8
	s_cbranch_execz .LBB28_32
; %bb.31:
	ds_load_b32 v4, v15 offset:8160
	s_waitcnt lgkmcnt(0)
	v_mov_b32_dpp v25, v4 row_shr:1 row_mask:0xf bank_mask:0xf
	s_delay_alu instid0(VALU_DEP_1) | instskip(NEXT) | instid1(VALU_DEP_1)
	v_cndmask_b32_e64 v25, v25, 0, s6
	v_add_nc_u32_e32 v4, v25, v4
	s_delay_alu instid0(VALU_DEP_1) | instskip(NEXT) | instid1(VALU_DEP_1)
	v_mov_b32_dpp v25, v4 row_shr:2 row_mask:0xf bank_mask:0xf
	v_cndmask_b32_e64 v25, 0, v25, s0
	s_delay_alu instid0(VALU_DEP_1) | instskip(NEXT) | instid1(VALU_DEP_1)
	v_add_nc_u32_e32 v4, v4, v25
	v_mov_b32_dpp v25, v4 row_shr:4 row_mask:0xf bank_mask:0xf
	s_delay_alu instid0(VALU_DEP_1) | instskip(NEXT) | instid1(VALU_DEP_1)
	v_cndmask_b32_e64 v25, 0, v25, s1
	v_add_nc_u32_e32 v4, v4, v25
	ds_store_b32 v15, v4 offset:8160
.LBB28_32:
	s_or_b32 exec_lo, exec_lo, s10
	v_sub_nc_u32_e32 v16, v15, v16
	v_cmp_lt_u32_e64 s10, 31, v0
	v_dual_mov_b32 v4, 0 :: v_dual_mov_b32 v25, 0
	s_waitcnt lgkmcnt(0)
	s_barrier
	buffer_gl0_inv
	s_and_saveexec_b32 s11, s10
	s_cbranch_execz .LBB28_34
; %bb.33:
	ds_load_b32 v25, v18 offset:8156
.LBB28_34:
	s_or_b32 exec_lo, exec_lo, s11
	v_add_nc_u32_e32 v26, -1, v21
	s_waitcnt lgkmcnt(0)
	v_add_nc_u32_e32 v27, v25, v22
	s_delay_alu instid0(VALU_DEP_2) | instskip(NEXT) | instid1(VALU_DEP_1)
	v_cmp_gt_i32_e64 s11, 0, v26
	v_cndmask_b32_e64 v26, v26, v21, s11
	v_cmp_eq_u32_e64 s11, 0, v21
	s_delay_alu instid0(VALU_DEP_2)
	v_lshlrev_b32_e32 v22, 2, v26
	ds_bpermute_b32 v26, v22, v27
	ds_load_b32 v27, v4 offset:8188
	s_waitcnt lgkmcnt(1)
	v_cndmask_b32_e64 v21, v26, v25, s11
	s_waitcnt lgkmcnt(0)
	s_delay_alu instid0(VALU_DEP_1) | instskip(NEXT) | instid1(VALU_DEP_1)
	v_lshl_add_u32 v25, v27, 16, v21
	v_add_nc_u32_e32 v26, v25, v5
	s_delay_alu instid0(VALU_DEP_1) | instskip(NEXT) | instid1(VALU_DEP_1)
	v_add_nc_u32_e32 v5, v26, v6
	v_add_nc_u32_e32 v6, v5, v7
	s_delay_alu instid0(VALU_DEP_1) | instskip(NEXT) | instid1(VALU_DEP_1)
	v_add_nc_u32_e32 v7, v6, v8
	;; [unrolled: 3-line block ×3, first 2 shown]
	v_add_nc_u32_e32 v2, v1, v3
	v_lshlrev_b16 v3, 8, v20
	ds_store_2addr_b64 v13, v[25:26], v[5:6] offset1:1
	ds_store_2addr_b64 v13, v[7:8], v[1:2] offset0:2 offset1:3
	s_waitcnt lgkmcnt(0)
	s_barrier
	buffer_gl0_inv
	ds_load_u16 v1, v24
	v_and_b32_e32 v2, 0xff, v19
	v_and_b32_e32 v5, 0xffff, v23
	s_waitcnt lgkmcnt(0)
	s_barrier
	buffer_gl0_inv
	v_or_b32_e32 v2, v3, v2
	v_add_lshl_u32 v1, v1, v5, 1
	ds_store_b16 v1, v2
	v_add_nc_u32_e32 v1, v1, v1
	s_waitcnt lgkmcnt(0)
	s_barrier
	buffer_gl0_inv
	ds_load_u16 v19, v16
	s_waitcnt lgkmcnt(0)
	s_barrier
	buffer_gl0_inv
	ds_store_b32 v1, v17
	s_waitcnt lgkmcnt(0)
	s_barrier
	buffer_gl0_inv
	ds_load_b32 v17, v15
	v_add_nc_u32_e32 v1, 0x7f8, v14
	s_waitcnt lgkmcnt(0)
	s_barrier
	buffer_gl0_inv
	ds_store_2addr_b32 v14, v4, v4 offset1:255
	ds_store_2addr_b32 v1, v4, v4 offset1:255
	s_and_saveexec_b32 s13, vcc_lo
	s_cbranch_execz .LBB28_39
; %bb.35:
	v_mov_b32_e32 v1, 0
	v_cmp_gt_u32_e64 s12, 0x2fd, v0
	ds_store_b32 v14, v1 offset:4080
	s_and_b32 exec_lo, exec_lo, s12
	s_cbranch_execz .LBB28_39
; %bb.36:
	v_cmp_gt_u32_e64 s12, 0x1fe, v0
	ds_store_b32 v14, v1 offset:5100
	s_and_b32 exec_lo, exec_lo, s12
	s_cbranch_execz .LBB28_39
; %bb.37:
	v_mov_b32_e32 v1, 0
	v_cmp_gt_u32_e64 s12, 0xff, v0
	ds_store_b32 v14, v1 offset:6120
	s_and_b32 exec_lo, exec_lo, s12
	s_cbranch_execz .LBB28_39
; %bb.38:
	ds_store_b32 v14, v1 offset:7140
.LBB28_39:
	s_or_b32 exec_lo, exec_lo, s13
	v_lshrrev_b16 v1, 12, v19
	s_delay_alu instid0(VALU_DEP_1) | instskip(NEXT) | instid1(VALU_DEP_1)
	v_and_b32_e32 v1, 0xffff, v1
	v_and_b32_e32 v2, 7, v1
	v_lshrrev_b32_e32 v1, 2, v1
	s_delay_alu instid0(VALU_DEP_2) | instskip(NEXT) | instid1(VALU_DEP_2)
	v_mad_u32_u24 v2, 0xff, v2, v0
	v_and_b32_e32 v1, 2, v1
	s_delay_alu instid0(VALU_DEP_1)
	v_lshl_or_b32 v21, v2, 2, v1
	ds_load_u16 v20, v21
	s_waitcnt lgkmcnt(0)
	v_add_nc_u16 v1, v20, 1
	ds_store_b16 v21, v1
	s_waitcnt lgkmcnt(0)
	s_barrier
	buffer_gl0_inv
	ds_load_2addr_b64 v[5:8], v13 offset1:1
	ds_load_2addr_b64 v[1:4], v13 offset0:2 offset1:3
	s_waitcnt lgkmcnt(1)
	v_add_nc_u32_e32 v23, v6, v5
	s_delay_alu instid0(VALU_DEP_1) | instskip(SKIP_1) | instid1(VALU_DEP_1)
	v_add3_u32 v23, v23, v7, v8
	s_waitcnt lgkmcnt(0)
	v_add3_u32 v23, v23, v1, v2
	s_delay_alu instid0(VALU_DEP_1) | instskip(NEXT) | instid1(VALU_DEP_1)
	v_add3_u32 v4, v23, v3, v4
	v_mov_b32_dpp v23, v4 row_shr:1 row_mask:0xf bank_mask:0xf
	s_delay_alu instid0(VALU_DEP_1) | instskip(NEXT) | instid1(VALU_DEP_1)
	v_cndmask_b32_e64 v23, v23, 0, s2
	v_add_nc_u32_e32 v4, v23, v4
	s_delay_alu instid0(VALU_DEP_1) | instskip(NEXT) | instid1(VALU_DEP_1)
	v_mov_b32_dpp v23, v4 row_shr:2 row_mask:0xf bank_mask:0xf
	v_cndmask_b32_e64 v23, 0, v23, s3
	s_delay_alu instid0(VALU_DEP_1) | instskip(NEXT) | instid1(VALU_DEP_1)
	v_add_nc_u32_e32 v4, v4, v23
	v_mov_b32_dpp v23, v4 row_shr:4 row_mask:0xf bank_mask:0xf
	s_delay_alu instid0(VALU_DEP_1) | instskip(NEXT) | instid1(VALU_DEP_1)
	v_cndmask_b32_e64 v23, 0, v23, s4
	v_add_nc_u32_e32 v4, v4, v23
	s_delay_alu instid0(VALU_DEP_1) | instskip(NEXT) | instid1(VALU_DEP_1)
	v_mov_b32_dpp v23, v4 row_shr:8 row_mask:0xf bank_mask:0xf
	v_cndmask_b32_e64 v23, 0, v23, s5
	s_delay_alu instid0(VALU_DEP_1) | instskip(SKIP_3) | instid1(VALU_DEP_1)
	v_add_nc_u32_e32 v4, v4, v23
	ds_swizzle_b32 v23, v4 offset:swizzle(BROADCAST,32,15)
	s_waitcnt lgkmcnt(0)
	v_cndmask_b32_e64 v23, v23, 0, s9
	v_add_nc_u32_e32 v23, v4, v23
	s_and_saveexec_b32 s12, s7
	s_cbranch_execz .LBB28_41
; %bb.40:
	ds_store_b32 v18, v23 offset:8160
.LBB28_41:
	s_or_b32 exec_lo, exec_lo, s12
	s_waitcnt lgkmcnt(0)
	s_barrier
	buffer_gl0_inv
	s_and_saveexec_b32 s12, s8
	s_cbranch_execz .LBB28_43
; %bb.42:
	ds_load_b32 v4, v15 offset:8160
	s_waitcnt lgkmcnt(0)
	v_mov_b32_dpp v24, v4 row_shr:1 row_mask:0xf bank_mask:0xf
	s_delay_alu instid0(VALU_DEP_1) | instskip(NEXT) | instid1(VALU_DEP_1)
	v_cndmask_b32_e64 v24, v24, 0, s6
	v_add_nc_u32_e32 v4, v24, v4
	s_delay_alu instid0(VALU_DEP_1) | instskip(NEXT) | instid1(VALU_DEP_1)
	v_mov_b32_dpp v24, v4 row_shr:2 row_mask:0xf bank_mask:0xf
	v_cndmask_b32_e64 v24, 0, v24, s0
	s_delay_alu instid0(VALU_DEP_1) | instskip(NEXT) | instid1(VALU_DEP_1)
	v_add_nc_u32_e32 v4, v4, v24
	v_mov_b32_dpp v24, v4 row_shr:4 row_mask:0xf bank_mask:0xf
	s_delay_alu instid0(VALU_DEP_1) | instskip(NEXT) | instid1(VALU_DEP_1)
	v_cndmask_b32_e64 v24, 0, v24, s1
	v_add_nc_u32_e32 v4, v4, v24
	ds_store_b32 v15, v4 offset:8160
.LBB28_43:
	s_or_b32 exec_lo, exec_lo, s12
	v_lshrrev_b16 v24, 8, v19
	v_dual_mov_b32 v4, 0 :: v_dual_mov_b32 v25, 0
	s_waitcnt lgkmcnt(0)
	s_barrier
	buffer_gl0_inv
	s_and_saveexec_b32 s12, s10
	s_cbranch_execz .LBB28_45
; %bb.44:
	ds_load_b32 v25, v18 offset:8156
.LBB28_45:
	s_or_b32 exec_lo, exec_lo, s12
	s_waitcnt lgkmcnt(0)
	v_add_nc_u32_e32 v23, v25, v23
	ds_load_b32 v26, v4 offset:8188
	ds_bpermute_b32 v23, v22, v23
	s_waitcnt lgkmcnt(0)
	v_cndmask_b32_e64 v23, v23, v25, s11
	s_delay_alu instid0(VALU_DEP_1) | instskip(NEXT) | instid1(VALU_DEP_1)
	v_lshl_add_u32 v25, v26, 16, v23
	v_add_nc_u32_e32 v26, v25, v5
	s_delay_alu instid0(VALU_DEP_1) | instskip(NEXT) | instid1(VALU_DEP_1)
	v_add_nc_u32_e32 v5, v26, v6
	v_add_nc_u32_e32 v6, v5, v7
	s_delay_alu instid0(VALU_DEP_1) | instskip(NEXT) | instid1(VALU_DEP_1)
	v_add_nc_u32_e32 v7, v6, v8
	;; [unrolled: 3-line block ×3, first 2 shown]
	v_add_nc_u32_e32 v2, v1, v3
	v_lshlrev_b16 v3, 8, v24
	ds_store_2addr_b64 v13, v[25:26], v[5:6] offset1:1
	ds_store_2addr_b64 v13, v[7:8], v[1:2] offset0:2 offset1:3
	s_waitcnt lgkmcnt(0)
	s_barrier
	buffer_gl0_inv
	ds_load_u16 v1, v21
	v_and_b32_e32 v2, 0xff, v19
	v_and_b32_e32 v5, 0xffff, v20
	s_waitcnt lgkmcnt(0)
	s_barrier
	buffer_gl0_inv
	v_or_b32_e32 v2, v3, v2
	v_add_lshl_u32 v1, v1, v5, 1
	ds_store_b16 v1, v2
	v_add_nc_u32_e32 v1, v1, v1
	s_waitcnt lgkmcnt(0)
	s_barrier
	buffer_gl0_inv
	ds_load_u16 v19, v16
	s_waitcnt lgkmcnt(0)
	s_barrier
	buffer_gl0_inv
	ds_store_b32 v1, v17
	s_waitcnt lgkmcnt(0)
	s_barrier
	buffer_gl0_inv
	ds_load_b32 v17, v15
	v_add_nc_u32_e32 v1, 0x7f8, v14
	s_waitcnt lgkmcnt(0)
	s_barrier
	buffer_gl0_inv
	ds_store_2addr_b32 v14, v4, v4 offset1:255
	ds_store_2addr_b32 v1, v4, v4 offset1:255
	s_and_saveexec_b32 s13, vcc_lo
	s_cbranch_execz .LBB28_50
; %bb.46:
	v_mov_b32_e32 v1, 0
	v_cmp_gt_u32_e64 s12, 0x2fd, v0
	ds_store_b32 v14, v1 offset:4080
	s_and_b32 exec_lo, exec_lo, s12
	s_cbranch_execz .LBB28_50
; %bb.47:
	v_cmp_gt_u32_e64 s12, 0x1fe, v0
	ds_store_b32 v14, v1 offset:5100
	s_and_b32 exec_lo, exec_lo, s12
	s_cbranch_execz .LBB28_50
; %bb.48:
	v_mov_b32_e32 v1, 0
	v_cmp_gt_u32_e64 s12, 0xff, v0
	ds_store_b32 v14, v1 offset:6120
	s_and_b32 exec_lo, exec_lo, s12
	s_cbranch_execz .LBB28_50
; %bb.49:
	ds_store_b32 v14, v1 offset:7140
.LBB28_50:
	s_or_b32 exec_lo, exec_lo, s13
	v_and_b32_e32 v1, 7, v19
	v_lshrrev_b32_e32 v2, 2, v19
	s_delay_alu instid0(VALU_DEP_2) | instskip(NEXT) | instid1(VALU_DEP_2)
	v_mad_u32_u24 v1, 0xff, v1, v0
	v_and_b32_e32 v2, 2, v2
	s_delay_alu instid0(VALU_DEP_1)
	v_lshl_or_b32 v21, v1, 2, v2
	ds_load_u16 v20, v21
	s_waitcnt lgkmcnt(0)
	v_add_nc_u16 v1, v20, 1
	ds_store_b16 v21, v1
	s_waitcnt lgkmcnt(0)
	s_barrier
	buffer_gl0_inv
	ds_load_2addr_b64 v[5:8], v13 offset1:1
	ds_load_2addr_b64 v[1:4], v13 offset0:2 offset1:3
	s_waitcnt lgkmcnt(1)
	v_add_nc_u32_e32 v23, v6, v5
	s_delay_alu instid0(VALU_DEP_1) | instskip(SKIP_1) | instid1(VALU_DEP_1)
	v_add3_u32 v23, v23, v7, v8
	s_waitcnt lgkmcnt(0)
	v_add3_u32 v23, v23, v1, v2
	s_delay_alu instid0(VALU_DEP_1) | instskip(NEXT) | instid1(VALU_DEP_1)
	v_add3_u32 v4, v23, v3, v4
	v_mov_b32_dpp v23, v4 row_shr:1 row_mask:0xf bank_mask:0xf
	s_delay_alu instid0(VALU_DEP_1) | instskip(NEXT) | instid1(VALU_DEP_1)
	v_cndmask_b32_e64 v23, v23, 0, s2
	v_add_nc_u32_e32 v4, v23, v4
	s_delay_alu instid0(VALU_DEP_1) | instskip(NEXT) | instid1(VALU_DEP_1)
	v_mov_b32_dpp v23, v4 row_shr:2 row_mask:0xf bank_mask:0xf
	v_cndmask_b32_e64 v23, 0, v23, s3
	s_delay_alu instid0(VALU_DEP_1) | instskip(NEXT) | instid1(VALU_DEP_1)
	v_add_nc_u32_e32 v4, v4, v23
	v_mov_b32_dpp v23, v4 row_shr:4 row_mask:0xf bank_mask:0xf
	s_delay_alu instid0(VALU_DEP_1) | instskip(NEXT) | instid1(VALU_DEP_1)
	v_cndmask_b32_e64 v23, 0, v23, s4
	v_add_nc_u32_e32 v4, v4, v23
	s_delay_alu instid0(VALU_DEP_1) | instskip(NEXT) | instid1(VALU_DEP_1)
	v_mov_b32_dpp v23, v4 row_shr:8 row_mask:0xf bank_mask:0xf
	v_cndmask_b32_e64 v23, 0, v23, s5
	s_delay_alu instid0(VALU_DEP_1) | instskip(SKIP_3) | instid1(VALU_DEP_1)
	v_add_nc_u32_e32 v4, v4, v23
	ds_swizzle_b32 v23, v4 offset:swizzle(BROADCAST,32,15)
	s_waitcnt lgkmcnt(0)
	v_cndmask_b32_e64 v23, v23, 0, s9
	v_add_nc_u32_e32 v23, v4, v23
	s_and_saveexec_b32 s12, s7
	s_cbranch_execz .LBB28_52
; %bb.51:
	ds_store_b32 v18, v23 offset:8160
.LBB28_52:
	s_or_b32 exec_lo, exec_lo, s12
	s_waitcnt lgkmcnt(0)
	s_barrier
	buffer_gl0_inv
	s_and_saveexec_b32 s12, s8
	s_cbranch_execz .LBB28_54
; %bb.53:
	ds_load_b32 v4, v15 offset:8160
	s_waitcnt lgkmcnt(0)
	v_mov_b32_dpp v24, v4 row_shr:1 row_mask:0xf bank_mask:0xf
	s_delay_alu instid0(VALU_DEP_1) | instskip(NEXT) | instid1(VALU_DEP_1)
	v_cndmask_b32_e64 v24, v24, 0, s6
	v_add_nc_u32_e32 v4, v24, v4
	s_delay_alu instid0(VALU_DEP_1) | instskip(NEXT) | instid1(VALU_DEP_1)
	v_mov_b32_dpp v24, v4 row_shr:2 row_mask:0xf bank_mask:0xf
	v_cndmask_b32_e64 v24, 0, v24, s0
	s_delay_alu instid0(VALU_DEP_1) | instskip(NEXT) | instid1(VALU_DEP_1)
	v_add_nc_u32_e32 v4, v4, v24
	v_mov_b32_dpp v24, v4 row_shr:4 row_mask:0xf bank_mask:0xf
	s_delay_alu instid0(VALU_DEP_1) | instskip(NEXT) | instid1(VALU_DEP_1)
	v_cndmask_b32_e64 v24, 0, v24, s1
	v_add_nc_u32_e32 v4, v4, v24
	ds_store_b32 v15, v4 offset:8160
.LBB28_54:
	s_or_b32 exec_lo, exec_lo, s12
	v_dual_mov_b32 v25, 0 :: v_dual_and_b32 v24, 0xff, v19
	v_mov_b32_e32 v4, 0
	s_waitcnt lgkmcnt(0)
	s_barrier
	buffer_gl0_inv
	s_and_saveexec_b32 s12, s10
	s_cbranch_execz .LBB28_56
; %bb.55:
	ds_load_b32 v25, v18 offset:8156
.LBB28_56:
	s_or_b32 exec_lo, exec_lo, s12
	s_waitcnt lgkmcnt(0)
	v_add_nc_u32_e32 v23, v25, v23
	ds_load_b32 v26, v4 offset:8188
	ds_bpermute_b32 v23, v22, v23
	s_waitcnt lgkmcnt(0)
	v_cndmask_b32_e64 v23, v23, v25, s11
	s_delay_alu instid0(VALU_DEP_1) | instskip(NEXT) | instid1(VALU_DEP_1)
	v_lshl_add_u32 v25, v26, 16, v23
	v_add_nc_u32_e32 v26, v25, v5
	s_delay_alu instid0(VALU_DEP_1) | instskip(NEXT) | instid1(VALU_DEP_1)
	v_add_nc_u32_e32 v5, v26, v6
	v_add_nc_u32_e32 v6, v5, v7
	s_delay_alu instid0(VALU_DEP_1) | instskip(NEXT) | instid1(VALU_DEP_1)
	v_add_nc_u32_e32 v7, v6, v8
	v_add_nc_u32_e32 v8, v7, v1
	s_delay_alu instid0(VALU_DEP_1) | instskip(NEXT) | instid1(VALU_DEP_1)
	v_add_nc_u32_e32 v1, v8, v2
	v_add_nc_u32_e32 v2, v1, v3
	v_and_b32_e32 v3, 0xffff, v20
	ds_store_2addr_b64 v13, v[25:26], v[5:6] offset1:1
	ds_store_2addr_b64 v13, v[7:8], v[1:2] offset0:2 offset1:3
	s_waitcnt lgkmcnt(0)
	s_barrier
	buffer_gl0_inv
	ds_load_u16 v1, v21
	v_and_b32_e32 v2, 0xffffff00, v19
	s_waitcnt lgkmcnt(0)
	s_barrier
	buffer_gl0_inv
	v_or_b32_e32 v2, v2, v24
	v_add_lshl_u32 v1, v1, v3, 1
	ds_store_b16 v1, v2
	v_add_nc_u32_e32 v1, v1, v1
	s_waitcnt lgkmcnt(0)
	s_barrier
	buffer_gl0_inv
	ds_load_u16 v19, v16
	s_waitcnt lgkmcnt(0)
	s_barrier
	buffer_gl0_inv
	ds_store_b32 v1, v17
	s_waitcnt lgkmcnt(0)
	s_barrier
	buffer_gl0_inv
	ds_load_b32 v8, v15
	v_add_nc_u32_e32 v1, 0x7f8, v14
	s_waitcnt lgkmcnt(0)
	s_barrier
	buffer_gl0_inv
	ds_store_2addr_b32 v14, v4, v4 offset1:255
	ds_store_2addr_b32 v1, v4, v4 offset1:255
	s_and_saveexec_b32 s12, vcc_lo
	s_cbranch_execz .LBB28_61
; %bb.57:
	v_mov_b32_e32 v1, 0
	v_cmp_gt_u32_e32 vcc_lo, 0x2fd, v0
	ds_store_b32 v14, v1 offset:4080
	s_and_b32 exec_lo, exec_lo, vcc_lo
	s_cbranch_execz .LBB28_61
; %bb.58:
	v_cmp_gt_u32_e32 vcc_lo, 0x1fe, v0
	ds_store_b32 v14, v1 offset:5100
	s_and_b32 exec_lo, exec_lo, vcc_lo
	s_cbranch_execz .LBB28_61
; %bb.59:
	v_mov_b32_e32 v1, 0
	v_cmp_gt_u32_e32 vcc_lo, 0xff, v0
	ds_store_b32 v14, v1 offset:6120
	s_and_b32 exec_lo, exec_lo, vcc_lo
	s_cbranch_execz .LBB28_61
; %bb.60:
	ds_store_b32 v14, v1 offset:7140
.LBB28_61:
	s_or_b32 exec_lo, exec_lo, s12
	v_and_b32_e32 v14, 0xff, v19
	s_delay_alu instid0(VALU_DEP_1) | instskip(NEXT) | instid1(VALU_DEP_1)
	v_lshrrev_b16 v1, 4, v14
	v_and_b32_e32 v1, 0xffff, v1
	s_delay_alu instid0(VALU_DEP_1) | instskip(SKIP_1) | instid1(VALU_DEP_2)
	v_and_b32_e32 v2, 7, v1
	v_lshrrev_b32_e32 v1, 2, v1
	v_mad_u32_u24 v0, 0xff, v2, v0
	s_delay_alu instid0(VALU_DEP_2) | instskip(NEXT) | instid1(VALU_DEP_1)
	v_and_b32_e32 v1, 2, v1
	v_lshl_or_b32 v20, v0, 2, v1
	ds_load_u16 v17, v20
	s_waitcnt lgkmcnt(0)
	v_add_nc_u16 v0, v17, 1
	ds_store_b16 v20, v0
	s_waitcnt lgkmcnt(0)
	s_barrier
	buffer_gl0_inv
	ds_load_2addr_b64 v[4:7], v13 offset1:1
	ds_load_2addr_b64 v[0:3], v13 offset0:2 offset1:3
	s_waitcnt lgkmcnt(1)
	v_add_nc_u32_e32 v21, v5, v4
	s_delay_alu instid0(VALU_DEP_1) | instskip(SKIP_1) | instid1(VALU_DEP_1)
	v_add3_u32 v21, v21, v6, v7
	s_waitcnt lgkmcnt(0)
	v_add3_u32 v21, v21, v0, v1
	s_delay_alu instid0(VALU_DEP_1) | instskip(NEXT) | instid1(VALU_DEP_1)
	v_add3_u32 v3, v21, v2, v3
	v_mov_b32_dpp v21, v3 row_shr:1 row_mask:0xf bank_mask:0xf
	s_delay_alu instid0(VALU_DEP_1) | instskip(NEXT) | instid1(VALU_DEP_1)
	v_cndmask_b32_e64 v21, v21, 0, s2
	v_add_nc_u32_e32 v3, v21, v3
	s_delay_alu instid0(VALU_DEP_1) | instskip(NEXT) | instid1(VALU_DEP_1)
	v_mov_b32_dpp v21, v3 row_shr:2 row_mask:0xf bank_mask:0xf
	v_cndmask_b32_e64 v21, 0, v21, s3
	s_delay_alu instid0(VALU_DEP_1) | instskip(NEXT) | instid1(VALU_DEP_1)
	v_add_nc_u32_e32 v3, v3, v21
	v_mov_b32_dpp v21, v3 row_shr:4 row_mask:0xf bank_mask:0xf
	s_delay_alu instid0(VALU_DEP_1) | instskip(NEXT) | instid1(VALU_DEP_1)
	v_cndmask_b32_e64 v21, 0, v21, s4
	v_add_nc_u32_e32 v3, v3, v21
	s_delay_alu instid0(VALU_DEP_1) | instskip(NEXT) | instid1(VALU_DEP_1)
	v_mov_b32_dpp v21, v3 row_shr:8 row_mask:0xf bank_mask:0xf
	v_cndmask_b32_e64 v21, 0, v21, s5
	s_delay_alu instid0(VALU_DEP_1) | instskip(SKIP_3) | instid1(VALU_DEP_1)
	v_add_nc_u32_e32 v3, v3, v21
	ds_swizzle_b32 v21, v3 offset:swizzle(BROADCAST,32,15)
	s_waitcnt lgkmcnt(0)
	v_cndmask_b32_e64 v21, v21, 0, s9
	v_add_nc_u32_e32 v3, v3, v21
	s_and_saveexec_b32 s2, s7
	s_cbranch_execz .LBB28_63
; %bb.62:
	ds_store_b32 v18, v3 offset:8160
.LBB28_63:
	s_or_b32 exec_lo, exec_lo, s2
	s_waitcnt lgkmcnt(0)
	s_barrier
	buffer_gl0_inv
	s_and_saveexec_b32 s2, s8
	s_cbranch_execz .LBB28_65
; %bb.64:
	ds_load_b32 v21, v15 offset:8160
	s_waitcnt lgkmcnt(0)
	v_mov_b32_dpp v23, v21 row_shr:1 row_mask:0xf bank_mask:0xf
	s_delay_alu instid0(VALU_DEP_1) | instskip(NEXT) | instid1(VALU_DEP_1)
	v_cndmask_b32_e64 v23, v23, 0, s6
	v_add_nc_u32_e32 v21, v23, v21
	s_delay_alu instid0(VALU_DEP_1) | instskip(NEXT) | instid1(VALU_DEP_1)
	v_mov_b32_dpp v23, v21 row_shr:2 row_mask:0xf bank_mask:0xf
	v_cndmask_b32_e64 v23, 0, v23, s0
	s_delay_alu instid0(VALU_DEP_1) | instskip(NEXT) | instid1(VALU_DEP_1)
	v_add_nc_u32_e32 v21, v21, v23
	v_mov_b32_dpp v23, v21 row_shr:4 row_mask:0xf bank_mask:0xf
	s_delay_alu instid0(VALU_DEP_1) | instskip(NEXT) | instid1(VALU_DEP_1)
	v_cndmask_b32_e64 v23, 0, v23, s1
	v_add_nc_u32_e32 v21, v21, v23
	ds_store_b32 v15, v21 offset:8160
.LBB28_65:
	s_or_b32 exec_lo, exec_lo, s2
	v_mov_b32_e32 v21, 0
	v_mov_b32_e32 v23, 0
	s_waitcnt lgkmcnt(0)
	s_barrier
	buffer_gl0_inv
	s_and_saveexec_b32 s0, s10
	s_cbranch_execz .LBB28_67
; %bb.66:
	ds_load_b32 v23, v18 offset:8156
.LBB28_67:
	s_or_b32 exec_lo, exec_lo, s0
	s_waitcnt lgkmcnt(0)
	v_add_nc_u32_e32 v3, v23, v3
	ds_load_b32 v18, v21 offset:8188
	ds_bpermute_b32 v3, v22, v3
	s_waitcnt lgkmcnt(0)
	v_cndmask_b32_e64 v3, v3, v23, s11
	s_delay_alu instid0(VALU_DEP_1) | instskip(NEXT) | instid1(VALU_DEP_1)
	v_lshl_add_u32 v3, v18, 16, v3
	v_add_nc_u32_e32 v4, v3, v4
	s_delay_alu instid0(VALU_DEP_1) | instskip(NEXT) | instid1(VALU_DEP_1)
	v_add_nc_u32_e32 v5, v4, v5
	v_add_nc_u32_e32 v6, v5, v6
	s_delay_alu instid0(VALU_DEP_1) | instskip(NEXT) | instid1(VALU_DEP_1)
	v_add_nc_u32_e32 v21, v6, v7
	;; [unrolled: 3-line block ×3, first 2 shown]
	v_add_nc_u32_e32 v1, v0, v2
	v_and_b32_e32 v2, 0xffff, v17
	ds_store_2addr_b64 v13, v[3:4], v[5:6] offset1:1
	ds_store_2addr_b64 v13, v[21:22], v[0:1] offset0:2 offset1:3
	s_waitcnt lgkmcnt(0)
	s_barrier
	buffer_gl0_inv
	ds_load_u16 v0, v20
	v_and_b32_e32 v1, 0xffffff00, v19
	s_waitcnt lgkmcnt(0)
	s_barrier
	buffer_gl0_inv
	v_or_b32_e32 v1, v1, v14
	v_add_lshl_u32 v0, v0, v2, 1
	ds_store_b16 v0, v1
	s_waitcnt lgkmcnt(0)
	s_barrier
	buffer_gl0_inv
	ds_load_u16 v1, v16
	v_add_nc_u32_e32 v0, v0, v0
	s_waitcnt lgkmcnt(0)
	s_barrier
	buffer_gl0_inv
	ds_store_b32 v0, v8
	s_waitcnt lgkmcnt(0)
	s_barrier
	v_lshrrev_b16 v2, 8, v1
.LBB28_68:
	s_waitcnt vmcnt(0)
	buffer_gl0_inv
	ds_load_b32 v0, v15
	v_lshlrev_b16 v2, 8, v2
	v_and_b32_e32 v1, 0xff, v1
	s_delay_alu instid0(VALU_DEP_1)
	v_or_b32_e32 v1, v1, v2
	global_store_b16 v[9:10], v1, off
	s_waitcnt lgkmcnt(0)
	global_store_b32 v[11:12], v0, off
	s_nop 0
	s_sendmsg sendmsg(MSG_DEALLOC_VGPRS)
	s_endpgm
	.section	.rodata,"a",@progbits
	.p2align	6, 0x0
	.amdhsa_kernel _Z21sort_key_value_kernelILj255ELj1ELb1ELb0EN10test_utils16custom_test_typeIhEEfEvPT3_PT4_jj
		.amdhsa_group_segment_fixed_size 8192
		.amdhsa_private_segment_fixed_size 0
		.amdhsa_kernarg_size 24
		.amdhsa_user_sgpr_count 15
		.amdhsa_user_sgpr_dispatch_ptr 0
		.amdhsa_user_sgpr_queue_ptr 0
		.amdhsa_user_sgpr_kernarg_segment_ptr 1
		.amdhsa_user_sgpr_dispatch_id 0
		.amdhsa_user_sgpr_private_segment_size 0
		.amdhsa_wavefront_size32 1
		.amdhsa_uses_dynamic_stack 0
		.amdhsa_enable_private_segment 0
		.amdhsa_system_sgpr_workgroup_id_x 1
		.amdhsa_system_sgpr_workgroup_id_y 0
		.amdhsa_system_sgpr_workgroup_id_z 0
		.amdhsa_system_sgpr_workgroup_info 0
		.amdhsa_system_vgpr_workitem_id 0
		.amdhsa_next_free_vgpr 30
		.amdhsa_next_free_sgpr 28
		.amdhsa_reserve_vcc 1
		.amdhsa_float_round_mode_32 0
		.amdhsa_float_round_mode_16_64 0
		.amdhsa_float_denorm_mode_32 3
		.amdhsa_float_denorm_mode_16_64 3
		.amdhsa_dx10_clamp 1
		.amdhsa_ieee_mode 1
		.amdhsa_fp16_overflow 0
		.amdhsa_workgroup_processor_mode 1
		.amdhsa_memory_ordered 1
		.amdhsa_forward_progress 0
		.amdhsa_shared_vgpr_count 0
		.amdhsa_exception_fp_ieee_invalid_op 0
		.amdhsa_exception_fp_denorm_src 0
		.amdhsa_exception_fp_ieee_div_zero 0
		.amdhsa_exception_fp_ieee_overflow 0
		.amdhsa_exception_fp_ieee_underflow 0
		.amdhsa_exception_fp_ieee_inexact 0
		.amdhsa_exception_int_div_zero 0
	.end_amdhsa_kernel
	.section	.text._Z21sort_key_value_kernelILj255ELj1ELb1ELb0EN10test_utils16custom_test_typeIhEEfEvPT3_PT4_jj,"axG",@progbits,_Z21sort_key_value_kernelILj255ELj1ELb1ELb0EN10test_utils16custom_test_typeIhEEfEvPT3_PT4_jj,comdat
.Lfunc_end28:
	.size	_Z21sort_key_value_kernelILj255ELj1ELb1ELb0EN10test_utils16custom_test_typeIhEEfEvPT3_PT4_jj, .Lfunc_end28-_Z21sort_key_value_kernelILj255ELj1ELb1ELb0EN10test_utils16custom_test_typeIhEEfEvPT3_PT4_jj
                                        ; -- End function
	.section	.AMDGPU.csdata,"",@progbits
; Kernel info:
; codeLenInByte = 5428
; NumSgprs: 30
; NumVgprs: 30
; ScratchSize: 0
; MemoryBound: 0
; FloatMode: 240
; IeeeMode: 1
; LDSByteSize: 8192 bytes/workgroup (compile time only)
; SGPRBlocks: 3
; VGPRBlocks: 3
; NumSGPRsForWavesPerEU: 30
; NumVGPRsForWavesPerEU: 30
; Occupancy: 16
; WaveLimiterHint : 0
; COMPUTE_PGM_RSRC2:SCRATCH_EN: 0
; COMPUTE_PGM_RSRC2:USER_SGPR: 15
; COMPUTE_PGM_RSRC2:TRAP_HANDLER: 0
; COMPUTE_PGM_RSRC2:TGID_X_EN: 1
; COMPUTE_PGM_RSRC2:TGID_Y_EN: 0
; COMPUTE_PGM_RSRC2:TGID_Z_EN: 0
; COMPUTE_PGM_RSRC2:TIDIG_COMP_CNT: 0
	.section	.text._Z21sort_key_value_kernelILj129ELj2ELb0ELb1EN10test_utils16custom_test_typeIfEEiEvPT3_PT4_jj,"axG",@progbits,_Z21sort_key_value_kernelILj129ELj2ELb0ELb1EN10test_utils16custom_test_typeIfEEiEvPT3_PT4_jj,comdat
	.protected	_Z21sort_key_value_kernelILj129ELj2ELb0ELb1EN10test_utils16custom_test_typeIfEEiEvPT3_PT4_jj ; -- Begin function _Z21sort_key_value_kernelILj129ELj2ELb0ELb1EN10test_utils16custom_test_typeIfEEiEvPT3_PT4_jj
	.globl	_Z21sort_key_value_kernelILj129ELj2ELb0ELb1EN10test_utils16custom_test_typeIfEEiEvPT3_PT4_jj
	.p2align	8
	.type	_Z21sort_key_value_kernelILj129ELj2ELb0ELb1EN10test_utils16custom_test_typeIfEEiEvPT3_PT4_jj,@function
_Z21sort_key_value_kernelILj129ELj2ELb0ELb1EN10test_utils16custom_test_typeIfEEiEvPT3_PT4_jj: ; @_Z21sort_key_value_kernelILj129ELj2ELb0ELb1EN10test_utils16custom_test_typeIfEEiEvPT3_PT4_jj
; %bb.0:
	s_clause 0x1
	s_load_b128 s[4:7], s[0:1], 0x0
	s_load_b64 s[24:25], s[0:1], 0x10
	s_mov_b32 s3, 0
	s_mul_i32 s2, s15, 0x102
	v_lshlrev_b32_e32 v25, 4, v0
	s_lshl_b64 s[8:9], s[2:3], 3
	v_mbcnt_lo_u32_b32 v5, -1, 0
	v_and_b32_e32 v8, 0xe0, v0
	v_lshlrev_b32_e32 v19, 5, v0
	v_lshrrev_b32_e32 v10, 3, v0
	v_lshlrev_b32_e32 v27, 2, v0
	v_add_nc_u32_e32 v9, -1, v5
	v_and_b32_e32 v6, 15, v5
	v_and_b32_e32 v7, 16, v5
	;; [unrolled: 1-line block ×3, first 2 shown]
	v_mad_i32_i24 v23, 0xffffffe4, v0, v19
	v_cmp_gt_i32_e32 vcc_lo, 0, v9
	v_lshlrev_b32_e32 v26, 3, v0
	v_cmp_gt_u32_e64 s12, 0x387, v0
	v_cmp_gt_u32_e64 s13, 0x306, v0
	s_waitcnt lgkmcnt(0)
	s_add_u32 s20, s4, s8
	s_addc_u32 s21, s5, s9
	s_lshl_b64 s[0:1], s[2:3], 2
	global_load_b128 v[1:4], v25, s[20:21]
	s_add_u32 s22, s6, s0
	s_addc_u32 s23, s7, s1
	v_cmp_eq_u32_e64 s2, 0, v5
	v_cndmask_b32_e32 v5, v9, v5, vcc_lo
	global_load_b64 v[13:14], v26, s[22:23]
	v_cmp_eq_u32_e64 s3, 0, v6
	v_cmp_lt_u32_e64 s4, 1, v6
	v_cmp_lt_u32_e64 s5, 3, v6
	;; [unrolled: 1-line block ×3, first 2 shown]
	v_min_u32_e32 v6, 0x61, v8
	v_lshlrev_b32_e32 v24, 2, v5
	v_cmp_eq_u32_e64 s7, 0, v7
	s_cmp_eq_u32 s24, 0
	v_mad_u32_u24 v21, v0, 12, v23
	v_add_nc_u32_e32 v6, 31, v6
	s_cselect_b32 s18, -1, 0
	s_cmp_eq_u32 s25, 64
	v_cmp_gt_u32_e64 s0, 5, v0
	s_cselect_b32 s19, -1, 0
	v_cmp_eq_u32_e64 s11, v6, v0
	s_and_b32 s18, s18, s19
	v_cmp_lt_u32_e64 s1, 31, v0
	v_cmp_gt_u32_e64 s14, 0x285, v0
	v_cmp_gt_u32_e64 s15, 0x204, v0
	;; [unrolled: 1-line block ×4, first 2 shown]
	v_and_b32_e32 v22, 28, v10
	v_cmp_eq_u32_e64 s8, 0, v11
	v_cmp_lt_u32_e64 s9, 1, v11
	v_cmp_lt_u32_e64 s10, 3, v11
	v_sub_nc_u32_e32 v20, v21, v26
	s_mov_b32 s19, -1
	s_waitcnt vmcnt(1)
	v_cmp_gt_i32_e32 vcc_lo, 0, v1
	v_cndmask_b32_e64 v5, 0x7fffffff, 0, vcc_lo
	v_cmp_gt_i32_e32 vcc_lo, 0, v2
	s_delay_alu instid0(VALU_DEP_2) | instskip(SKIP_2) | instid1(VALU_DEP_2)
	v_xor_b32_e32 v1, v5, v1
	v_cndmask_b32_e64 v6, 0x7fffffff, 0, vcc_lo
	v_cmp_gt_i32_e32 vcc_lo, 0, v3
	v_xor_b32_e32 v2, v6, v2
	v_cndmask_b32_e64 v7, 0x7fffffff, 0, vcc_lo
	v_cmp_gt_i32_e32 vcc_lo, 0, v4
	s_delay_alu instid0(VALU_DEP_2) | instskip(SKIP_3) | instid1(VALU_DEP_2)
	v_xor_b32_e32 v3, v7, v3
	v_cndmask_b32_e64 v8, 0x7fffffff, 0, vcc_lo
	s_and_b32 vcc_lo, exec_lo, s18
	v_cmp_gt_u32_e64 s18, 0x81, v0
	v_xor_b32_e32 v4, v8, v4
	s_cbranch_vccnz .LBB29_20
; %bb.1:
	v_dual_mov_b32 v30, 0 :: v_dual_mov_b32 v7, v3
	s_delay_alu instid0(VALU_DEP_2)
	v_dual_mov_b32 v8, v4 :: v_dual_mov_b32 v5, v1
	s_waitcnt vmcnt(0)
	v_dual_mov_b32 v6, v2 :: v_dual_mov_b32 v9, v13
	v_mov_b32_e32 v10, v14
	s_sub_i32 s26, 0, s24
	s_sub_i32 s27, s25, s24
	s_branch .LBB29_3
.LBB29_2:                               ;   in Loop: Header=BB29_3 Depth=1
	s_delay_alu instid0(VALU_DEP_2) | instskip(NEXT) | instid1(VALU_DEP_2)
	v_add_nc_u32_e32 v9, v12, v32
	v_add_nc_u32_e32 v10, v11, v31
	s_barrier
	buffer_gl0_inv
	ds_store_b64 v12, v[17:18]
	ds_store_b64 v11, v[15:16]
	s_waitcnt lgkmcnt(0)
	s_barrier
	buffer_gl0_inv
	ds_load_2addr_b64 v[5:8], v21 offset1:1
	s_waitcnt lgkmcnt(0)
	s_barrier
	buffer_gl0_inv
	ds_store_b32 v9, v29
	ds_store_b32 v10, v28
	s_waitcnt lgkmcnt(0)
	s_barrier
	buffer_gl0_inv
	ds_load_b64 v[9:10], v20
	s_add_i32 s26, s26, -4
	s_add_i32 s27, s27, -4
	s_waitcnt lgkmcnt(0)
	s_barrier
	buffer_gl0_inv
	s_cbranch_execz .LBB29_19
.LBB29_3:                               ; =>This Inner Loop Header: Depth=1
	s_delay_alu instid0(VALU_DEP_1)
	v_dual_mov_b32 v28, v10 :: v_dual_mov_b32 v29, v9
	v_dual_mov_b32 v17, v5 :: v_dual_mov_b32 v18, v6
	;; [unrolled: 1-line block ×3, first 2 shown]
	ds_store_b32 v27, v30
	s_and_saveexec_b32 s19, s12
	s_cbranch_execz .LBB29_11
; %bb.4:                                ;   in Loop: Header=BB29_3 Depth=1
	ds_store_b32 v27, v30 offset:516
	s_and_b32 exec_lo, exec_lo, s13
	s_cbranch_execz .LBB29_11
; %bb.5:                                ;   in Loop: Header=BB29_3 Depth=1
	ds_store_b32 v27, v30 offset:1032
	s_and_b32 exec_lo, exec_lo, s14
	;; [unrolled: 4-line block ×6, first 2 shown]
	s_cbranch_execz .LBB29_11
; %bb.10:                               ;   in Loop: Header=BB29_3 Depth=1
	ds_store_b32 v27, v30 offset:3612
.LBB29_11:                              ;   in Loop: Header=BB29_3 Depth=1
	s_or_b32 exec_lo, exec_lo, s19
	s_max_i32 s28, s24, 0
	s_max_i32 s29, s26, 0
	s_add_i32 s19, s28, s26
	s_add_i32 s30, s25, s26
	s_min_u32 s31, s27, 4
	s_sub_i32 s19, s19, s29
	s_min_u32 s30, s30, 4
	s_add_i32 s31, s31, s24
	s_cmp_lt_i32 s24, 32
	v_lshrrev_b32_e32 v5, s28, v18
	s_cselect_b32 s33, -1, 0
	s_cmp_gt_i32 s31, 0
	s_cselect_b32 s34, -1, 0
	s_delay_alu instid0(SALU_CYCLE_1)
	s_and_b32 vcc_lo, s33, s34
	s_cmp_lt_i32 s24, 64
	s_cselect_b32 s33, -1, 0
	s_cmp_gt_i32 s31, 32
	s_cselect_b32 s34, -1, 0
	s_add_i32 s19, s19, s31
	s_delay_alu instid0(SALU_CYCLE_1) | instskip(NEXT) | instid1(SALU_CYCLE_1)
	s_min_i32 s19, s19, 32
	s_sub_i32 s31, s19, s28
	s_and_b32 s19, s33, s34
	s_lshl_b32 s35, -1, s31
	s_delay_alu instid0(SALU_CYCLE_1)
	s_not_b32 s33, s35
	s_cmp_lg_u32 s31, 32
	s_cselect_b32 s31, s33, -1
	s_max_i32 s33, s24, 32
	s_add_i32 s34, s26, 32
	s_sub_i32 s33, s33, 32
	s_max_i32 s34, s34, 0
	s_add_i32 s30, s33, s30
	v_lshrrev_b32_e32 v6, s33, v17
	s_sub_i32 s30, s30, s34
	v_and_b32_e32 v5, s31, v5
	s_min_i32 s30, s30, 32
	v_lshrrev_b32_e32 v8, s33, v15
	s_sub_i32 s30, s30, s33
	s_delay_alu instid0(SALU_CYCLE_1)
	s_lshl_b32 s35, -1, s30
	v_lshlrev_b32_e32 v5, s29, v5
	s_not_b32 s35, s35
	s_cmp_lg_u32 s30, 32
	s_cselect_b32 s30, s35, -1
	s_delay_alu instid0(VALU_DEP_1) | instid1(SALU_CYCLE_1)
	v_dual_cndmask_b32 v5, 0, v5 :: v_dual_and_b32 v6, s30, v6
	v_and_b32_e32 v8, s30, v8
	s_delay_alu instid0(VALU_DEP_2) | instskip(NEXT) | instid1(VALU_DEP_2)
	v_lshlrev_b32_e32 v6, s34, v6
	v_lshlrev_b32_e32 v8, s34, v8
	s_delay_alu instid0(VALU_DEP_2) | instskip(NEXT) | instid1(VALU_DEP_1)
	v_cndmask_b32_e64 v6, 0, v6, s19
	v_or_b32_e32 v5, v5, v6
	v_lshrrev_b32_e32 v6, s28, v16
	s_delay_alu instid0(VALU_DEP_2) | instskip(NEXT) | instid1(VALU_DEP_2)
	v_and_b32_e32 v7, 7, v5
	v_and_b32_e32 v6, s31, v6
	v_lshrrev_b32_e32 v5, 3, v5
	s_delay_alu instid0(VALU_DEP_3) | instskip(NEXT) | instid1(VALU_DEP_3)
	v_mul_u32_u24_e32 v7, 0x81, v7
	v_lshlrev_b32_e32 v6, s29, v6
	s_delay_alu instid0(VALU_DEP_2) | instskip(NEXT) | instid1(VALU_DEP_2)
	v_add_lshl_u32 v7, v7, v0, 1
	v_cndmask_b32_e32 v6, 0, v6, vcc_lo
	s_delay_alu instid0(VALU_DEP_2) | instskip(SKIP_3) | instid1(VALU_DEP_1)
	v_add_lshl_u32 v32, v7, v5, 1
	v_cndmask_b32_e64 v5, 0, v8, s19
	ds_load_u16 v31, v32
	v_or_b32_e32 v5, v6, v5
	v_and_b32_e32 v6, 7, v5
	v_lshrrev_b32_e32 v5, 3, v5
	s_delay_alu instid0(VALU_DEP_2) | instskip(NEXT) | instid1(VALU_DEP_1)
	v_mul_u32_u24_e32 v6, 0x81, v6
	v_add_lshl_u32 v6, v6, v0, 1
	s_waitcnt lgkmcnt(0)
	v_add_nc_u16 v7, v31, 1
	s_delay_alu instid0(VALU_DEP_2)
	v_add_lshl_u32 v33, v6, v5, 1
	ds_store_b16 v32, v7
	ds_load_u16 v34, v33
	s_waitcnt lgkmcnt(0)
	v_add_nc_u16 v5, v34, 1
	ds_store_b16 v33, v5
	s_waitcnt lgkmcnt(0)
	s_barrier
	buffer_gl0_inv
	ds_load_2addr_b64 v[9:12], v19 offset1:1
	ds_load_2addr_b64 v[5:8], v19 offset0:2 offset1:3
	s_waitcnt lgkmcnt(1)
	v_add_nc_u32_e32 v35, v10, v9
	s_delay_alu instid0(VALU_DEP_1) | instskip(SKIP_1) | instid1(VALU_DEP_1)
	v_add3_u32 v35, v35, v11, v12
	s_waitcnt lgkmcnt(0)
	v_add3_u32 v35, v35, v5, v6
	s_delay_alu instid0(VALU_DEP_1) | instskip(NEXT) | instid1(VALU_DEP_1)
	v_add3_u32 v8, v35, v7, v8
	v_mov_b32_dpp v35, v8 row_shr:1 row_mask:0xf bank_mask:0xf
	s_delay_alu instid0(VALU_DEP_1) | instskip(NEXT) | instid1(VALU_DEP_1)
	v_cndmask_b32_e64 v35, v35, 0, s3
	v_add_nc_u32_e32 v8, v35, v8
	s_delay_alu instid0(VALU_DEP_1) | instskip(NEXT) | instid1(VALU_DEP_1)
	v_mov_b32_dpp v35, v8 row_shr:2 row_mask:0xf bank_mask:0xf
	v_cndmask_b32_e64 v35, 0, v35, s4
	s_delay_alu instid0(VALU_DEP_1) | instskip(NEXT) | instid1(VALU_DEP_1)
	v_add_nc_u32_e32 v8, v8, v35
	v_mov_b32_dpp v35, v8 row_shr:4 row_mask:0xf bank_mask:0xf
	s_delay_alu instid0(VALU_DEP_1) | instskip(NEXT) | instid1(VALU_DEP_1)
	v_cndmask_b32_e64 v35, 0, v35, s5
	v_add_nc_u32_e32 v8, v8, v35
	s_delay_alu instid0(VALU_DEP_1) | instskip(NEXT) | instid1(VALU_DEP_1)
	v_mov_b32_dpp v35, v8 row_shr:8 row_mask:0xf bank_mask:0xf
	v_cndmask_b32_e64 v35, 0, v35, s6
	s_delay_alu instid0(VALU_DEP_1) | instskip(SKIP_3) | instid1(VALU_DEP_1)
	v_add_nc_u32_e32 v8, v8, v35
	ds_swizzle_b32 v35, v8 offset:swizzle(BROADCAST,32,15)
	s_waitcnt lgkmcnt(0)
	v_cndmask_b32_e64 v35, v35, 0, s7
	v_add_nc_u32_e32 v8, v8, v35
	s_and_saveexec_b32 s19, s11
	s_cbranch_execz .LBB29_13
; %bb.12:                               ;   in Loop: Header=BB29_3 Depth=1
	ds_store_b32 v22, v8 offset:4128
.LBB29_13:                              ;   in Loop: Header=BB29_3 Depth=1
	s_or_b32 exec_lo, exec_lo, s19
	s_waitcnt lgkmcnt(0)
	s_barrier
	buffer_gl0_inv
	s_and_saveexec_b32 s19, s0
	s_cbranch_execz .LBB29_15
; %bb.14:                               ;   in Loop: Header=BB29_3 Depth=1
	ds_load_b32 v35, v23 offset:4128
	s_waitcnt lgkmcnt(0)
	v_mov_b32_dpp v36, v35 row_shr:1 row_mask:0xf bank_mask:0xf
	s_delay_alu instid0(VALU_DEP_1) | instskip(NEXT) | instid1(VALU_DEP_1)
	v_cndmask_b32_e64 v36, v36, 0, s8
	v_add_nc_u32_e32 v35, v36, v35
	s_delay_alu instid0(VALU_DEP_1) | instskip(NEXT) | instid1(VALU_DEP_1)
	v_mov_b32_dpp v36, v35 row_shr:2 row_mask:0xf bank_mask:0xf
	v_cndmask_b32_e64 v36, 0, v36, s9
	s_delay_alu instid0(VALU_DEP_1) | instskip(NEXT) | instid1(VALU_DEP_1)
	v_add_nc_u32_e32 v35, v35, v36
	v_mov_b32_dpp v36, v35 row_shr:4 row_mask:0xf bank_mask:0xf
	s_delay_alu instid0(VALU_DEP_1) | instskip(NEXT) | instid1(VALU_DEP_1)
	v_cndmask_b32_e64 v36, 0, v36, s10
	v_add_nc_u32_e32 v35, v35, v36
	ds_store_b32 v23, v35 offset:4128
.LBB29_15:                              ;   in Loop: Header=BB29_3 Depth=1
	s_or_b32 exec_lo, exec_lo, s19
	v_mov_b32_e32 v35, 0
	s_waitcnt lgkmcnt(0)
	s_barrier
	buffer_gl0_inv
	s_and_saveexec_b32 s19, s1
	s_cbranch_execz .LBB29_17
; %bb.16:                               ;   in Loop: Header=BB29_3 Depth=1
	ds_load_b32 v35, v22 offset:4124
.LBB29_17:                              ;   in Loop: Header=BB29_3 Depth=1
	s_or_b32 exec_lo, exec_lo, s19
	s_waitcnt lgkmcnt(0)
	v_add_nc_u32_e32 v8, v35, v8
	ds_load_b32 v36, v30 offset:4144
	s_add_i32 s24, s24, 4
	s_delay_alu instid0(SALU_CYCLE_1) | instskip(SKIP_3) | instid1(VALU_DEP_1)
	s_cmp_ge_u32 s24, s25
	ds_bpermute_b32 v8, v24, v8
	s_waitcnt lgkmcnt(0)
	v_cndmask_b32_e64 v8, v8, v35, s2
	v_lshl_add_u32 v8, v36, 16, v8
	s_delay_alu instid0(VALU_DEP_1) | instskip(NEXT) | instid1(VALU_DEP_1)
	v_add_nc_u32_e32 v9, v8, v9
	v_add_nc_u32_e32 v10, v9, v10
	s_delay_alu instid0(VALU_DEP_1) | instskip(NEXT) | instid1(VALU_DEP_1)
	v_add_nc_u32_e32 v11, v10, v11
	v_add_nc_u32_e32 v35, v11, v12
	;; [unrolled: 3-line block ×3, first 2 shown]
	s_delay_alu instid0(VALU_DEP_1)
	v_add_nc_u32_e32 v6, v5, v7
	v_and_b32_e32 v7, 0xffff, v31
	ds_store_2addr_b64 v19, v[8:9], v[10:11] offset1:1
	ds_store_2addr_b64 v19, v[35:36], v[5:6] offset0:2 offset1:3
	s_waitcnt lgkmcnt(0)
	s_barrier
	buffer_gl0_inv
	ds_load_u16 v5, v32
	ds_load_u16 v6, v33
	v_and_b32_e32 v8, 0xffff, v34
	s_waitcnt lgkmcnt(0)
	v_add_nc_u32_e32 v5, v5, v7
	s_delay_alu instid0(VALU_DEP_2) | instskip(NEXT) | instid1(VALU_DEP_2)
	v_add_nc_u32_e32 v6, v6, v8
	v_lshlrev_b32_e32 v7, 2, v5
	s_delay_alu instid0(VALU_DEP_2) | instskip(SKIP_2) | instid1(VALU_DEP_4)
	v_lshlrev_b32_e32 v8, 2, v6
	v_lshlrev_b32_e32 v12, 3, v5
	;; [unrolled: 1-line block ×3, first 2 shown]
	v_sub_nc_u32_e32 v32, 0, v7
	s_delay_alu instid0(VALU_DEP_4)
	v_sub_nc_u32_e32 v31, 0, v8
	s_cbranch_scc0 .LBB29_2
; %bb.18:
                                        ; implicit-def: $vgpr10
                                        ; implicit-def: $vgpr5
                                        ; implicit-def: $sgpr26
                                        ; implicit-def: $sgpr27
.LBB29_19:
	s_barrier
	buffer_gl0_inv
	ds_store_b64 v12, v[17:18]
	ds_store_b64 v11, v[15:16]
	s_waitcnt lgkmcnt(0)
	s_barrier
	buffer_gl0_inv
	ds_load_2addr_b64 v[5:8], v21 offset1:1
	v_add_nc_u32_e32 v9, v12, v32
	v_add_nc_u32_e32 v10, v11, v31
	s_waitcnt lgkmcnt(0)
	s_barrier
	buffer_gl0_inv
	ds_store_b32 v9, v29
	ds_store_b32 v10, v28
	s_waitcnt lgkmcnt(0)
	s_mov_b32 s19, 0
	s_barrier
	s_branch .LBB29_21
.LBB29_20:
                                        ; implicit-def: $vgpr5
.LBB29_21:
	v_add_co_u32 v9, s12, s20, v25
	s_delay_alu instid0(VALU_DEP_1) | instskip(SKIP_1) | instid1(VALU_DEP_1)
	v_add_co_ci_u32_e64 v10, null, s21, 0, s12
	v_add_co_u32 v11, s12, s22, v26
	v_add_co_ci_u32_e64 v12, null, s23, 0, s12
	s_and_b32 vcc_lo, exec_lo, s19
	s_cbranch_vccz .LBB29_41
; %bb.22:
	v_sub_nc_u32_e32 v5, 0, v27
	v_cmp_gt_u32_e64 s12, 0x387, v0
	v_cmp_gt_u32_e64 s13, 0x306, v0
	;; [unrolled: 1-line block ×7, first 2 shown]
	v_dual_mov_b32 v28, 0 :: v_dual_add_nc_u32 v27, v20, v5
	s_mov_b32 s20, 0
	s_mov_b32 s21, 32
	;; [unrolled: 1-line block ×3, first 2 shown]
	s_branch .LBB29_24
.LBB29_23:                              ;   in Loop: Header=BB29_24 Depth=1
	s_delay_alu instid0(VALU_DEP_2) | instskip(NEXT) | instid1(VALU_DEP_2)
	v_add_nc_u32_e32 v5, v30, v32
	v_add_nc_u32_e32 v6, v29, v31
	s_barrier
	buffer_gl0_inv
	ds_store_b64 v30, v[17:18]
	ds_store_b64 v29, v[15:16]
	s_waitcnt lgkmcnt(0)
	s_barrier
	buffer_gl0_inv
	ds_load_2addr_b64 v[1:4], v21 offset1:1
	s_waitcnt lgkmcnt(0)
	s_barrier
	buffer_gl0_inv
	ds_store_b32 v5, v26
	ds_store_b32 v6, v25
	s_waitcnt lgkmcnt(0)
	s_barrier
	buffer_gl0_inv
	ds_load_b64 v[13:14], v20
	s_add_i32 s21, s21, -4
	s_add_i32 s22, s22, 4
	s_add_i32 s20, s20, 4
	s_waitcnt lgkmcnt(0)
	s_barrier
	buffer_gl0_inv
	s_cbranch_execz .LBB29_40
.LBB29_24:                              ; =>This Inner Loop Header: Depth=1
	s_waitcnt vmcnt(0)
	v_dual_mov_b32 v25, v14 :: v_dual_mov_b32 v26, v13
	v_dual_mov_b32 v17, v1 :: v_dual_mov_b32 v18, v2
	v_dual_mov_b32 v15, v3 :: v_dual_mov_b32 v16, v4
	ds_store_b32 v27, v28
	s_and_saveexec_b32 s19, s12
	s_cbranch_execz .LBB29_32
; %bb.25:                               ;   in Loop: Header=BB29_24 Depth=1
	ds_store_b32 v27, v28 offset:516
	s_and_b32 exec_lo, exec_lo, s13
	s_cbranch_execz .LBB29_32
; %bb.26:                               ;   in Loop: Header=BB29_24 Depth=1
	ds_store_b32 v27, v28 offset:1032
	s_and_b32 exec_lo, exec_lo, s14
	;; [unrolled: 4-line block ×6, first 2 shown]
	s_cbranch_execz .LBB29_32
; %bb.31:                               ;   in Loop: Header=BB29_24 Depth=1
	ds_store_b32 v27, v28 offset:3612
.LBB29_32:                              ;   in Loop: Header=BB29_24 Depth=1
	s_or_b32 exec_lo, exec_lo, s19
	s_min_i32 s23, s22, 32
	s_cmp_lt_u32 s20, 32
	v_lshrrev_b32_e32 v2, s20, v18
	s_cselect_b32 vcc_lo, -1, 0
	s_cmp_gt_u32 s20, 28
	v_lshrrev_b32_e32 v4, s20, v16
	s_cselect_b32 s19, -1, 0
	s_sub_i32 s23, s23, 32
	s_delay_alu instid0(SALU_CYCLE_1) | instskip(NEXT) | instid1(SALU_CYCLE_1)
	s_add_i32 s24, s23, s21
	s_lshl_b32 s24, -1, s24
	s_delay_alu instid0(SALU_CYCLE_1)
	s_not_b32 s24, s24
	s_cmp_lg_u32 s23, s20
	s_cselect_b32 s23, s24, -1
	s_max_i32 s24, s21, 0
	s_max_i32 s25, s20, 32
	v_and_b32_e32 v2, s23, v2
	s_sub_i32 s26, s25, s24
	s_sub_i32 s25, s25, 32
	;; [unrolled: 1-line block ×3, first 2 shown]
	v_lshrrev_b32_e32 v1, s25, v17
	s_min_i32 s26, s26, 32
	v_and_b32_e32 v4, s23, v4
	s_sub_i32 s26, s26, s25
	v_lshrrev_b32_e32 v3, s25, v15
	s_lshl_b32 s27, -1, s26
	v_cndmask_b32_e32 v2, 0, v2, vcc_lo
	s_not_b32 s27, s27
	s_cmp_lg_u32 s26, 32
	v_cndmask_b32_e32 v4, 0, v4, vcc_lo
	s_cselect_b32 s26, s27, -1
	s_delay_alu instid0(SALU_CYCLE_1) | instskip(SKIP_1) | instid1(VALU_DEP_2)
	v_and_b32_e32 v1, s26, v1
	v_and_b32_e32 v3, s26, v3
	v_lshlrev_b32_e32 v1, s24, v1
	s_delay_alu instid0(VALU_DEP_2) | instskip(NEXT) | instid1(VALU_DEP_2)
	v_lshlrev_b32_e32 v3, s24, v3
	v_cndmask_b32_e64 v1, 0, v1, s19
	s_delay_alu instid0(VALU_DEP_1) | instskip(NEXT) | instid1(VALU_DEP_1)
	v_or_b32_e32 v1, v2, v1
	v_and_b32_e32 v2, 7, v1
	v_lshrrev_b32_e32 v1, 3, v1
	s_delay_alu instid0(VALU_DEP_2) | instskip(NEXT) | instid1(VALU_DEP_1)
	v_mul_u32_u24_e32 v2, 0x81, v2
	v_add_lshl_u32 v2, v2, v0, 1
	s_delay_alu instid0(VALU_DEP_1) | instskip(SKIP_3) | instid1(VALU_DEP_1)
	v_add_lshl_u32 v14, v2, v1, 1
	v_cndmask_b32_e64 v1, 0, v3, s19
	ds_load_u16 v13, v14
	v_or_b32_e32 v1, v4, v1
	v_and_b32_e32 v2, 7, v1
	v_lshrrev_b32_e32 v1, 3, v1
	s_delay_alu instid0(VALU_DEP_2) | instskip(NEXT) | instid1(VALU_DEP_1)
	v_mul_u32_u24_e32 v2, 0x81, v2
	v_add_lshl_u32 v2, v2, v0, 1
	s_waitcnt lgkmcnt(0)
	v_add_nc_u16 v3, v13, 1
	s_delay_alu instid0(VALU_DEP_2)
	v_add_lshl_u32 v29, v2, v1, 1
	ds_store_b16 v14, v3
	ds_load_u16 v30, v29
	s_waitcnt lgkmcnt(0)
	v_add_nc_u16 v1, v30, 1
	ds_store_b16 v29, v1
	s_waitcnt lgkmcnt(0)
	s_barrier
	buffer_gl0_inv
	ds_load_2addr_b64 v[5:8], v19 offset1:1
	ds_load_2addr_b64 v[1:4], v19 offset0:2 offset1:3
	s_waitcnt lgkmcnt(1)
	v_add_nc_u32_e32 v31, v6, v5
	s_delay_alu instid0(VALU_DEP_1) | instskip(SKIP_1) | instid1(VALU_DEP_1)
	v_add3_u32 v31, v31, v7, v8
	s_waitcnt lgkmcnt(0)
	v_add3_u32 v31, v31, v1, v2
	s_delay_alu instid0(VALU_DEP_1) | instskip(NEXT) | instid1(VALU_DEP_1)
	v_add3_u32 v4, v31, v3, v4
	v_mov_b32_dpp v31, v4 row_shr:1 row_mask:0xf bank_mask:0xf
	s_delay_alu instid0(VALU_DEP_1) | instskip(NEXT) | instid1(VALU_DEP_1)
	v_cndmask_b32_e64 v31, v31, 0, s3
	v_add_nc_u32_e32 v4, v31, v4
	s_delay_alu instid0(VALU_DEP_1) | instskip(NEXT) | instid1(VALU_DEP_1)
	v_mov_b32_dpp v31, v4 row_shr:2 row_mask:0xf bank_mask:0xf
	v_cndmask_b32_e64 v31, 0, v31, s4
	s_delay_alu instid0(VALU_DEP_1) | instskip(NEXT) | instid1(VALU_DEP_1)
	v_add_nc_u32_e32 v4, v4, v31
	v_mov_b32_dpp v31, v4 row_shr:4 row_mask:0xf bank_mask:0xf
	s_delay_alu instid0(VALU_DEP_1) | instskip(NEXT) | instid1(VALU_DEP_1)
	v_cndmask_b32_e64 v31, 0, v31, s5
	v_add_nc_u32_e32 v4, v4, v31
	s_delay_alu instid0(VALU_DEP_1) | instskip(NEXT) | instid1(VALU_DEP_1)
	v_mov_b32_dpp v31, v4 row_shr:8 row_mask:0xf bank_mask:0xf
	v_cndmask_b32_e64 v31, 0, v31, s6
	s_delay_alu instid0(VALU_DEP_1) | instskip(SKIP_3) | instid1(VALU_DEP_1)
	v_add_nc_u32_e32 v4, v4, v31
	ds_swizzle_b32 v31, v4 offset:swizzle(BROADCAST,32,15)
	s_waitcnt lgkmcnt(0)
	v_cndmask_b32_e64 v31, v31, 0, s7
	v_add_nc_u32_e32 v4, v4, v31
	s_and_saveexec_b32 s19, s11
	s_cbranch_execz .LBB29_34
; %bb.33:                               ;   in Loop: Header=BB29_24 Depth=1
	ds_store_b32 v22, v4 offset:4128
.LBB29_34:                              ;   in Loop: Header=BB29_24 Depth=1
	s_or_b32 exec_lo, exec_lo, s19
	s_waitcnt lgkmcnt(0)
	s_barrier
	buffer_gl0_inv
	s_and_saveexec_b32 s19, s0
	s_cbranch_execz .LBB29_36
; %bb.35:                               ;   in Loop: Header=BB29_24 Depth=1
	ds_load_b32 v31, v23 offset:4128
	s_waitcnt lgkmcnt(0)
	v_mov_b32_dpp v32, v31 row_shr:1 row_mask:0xf bank_mask:0xf
	s_delay_alu instid0(VALU_DEP_1) | instskip(NEXT) | instid1(VALU_DEP_1)
	v_cndmask_b32_e64 v32, v32, 0, s8
	v_add_nc_u32_e32 v31, v32, v31
	s_delay_alu instid0(VALU_DEP_1) | instskip(NEXT) | instid1(VALU_DEP_1)
	v_mov_b32_dpp v32, v31 row_shr:2 row_mask:0xf bank_mask:0xf
	v_cndmask_b32_e64 v32, 0, v32, s9
	s_delay_alu instid0(VALU_DEP_1) | instskip(NEXT) | instid1(VALU_DEP_1)
	v_add_nc_u32_e32 v31, v31, v32
	v_mov_b32_dpp v32, v31 row_shr:4 row_mask:0xf bank_mask:0xf
	s_delay_alu instid0(VALU_DEP_1) | instskip(NEXT) | instid1(VALU_DEP_1)
	v_cndmask_b32_e64 v32, 0, v32, s10
	v_add_nc_u32_e32 v31, v31, v32
	ds_store_b32 v23, v31 offset:4128
.LBB29_36:                              ;   in Loop: Header=BB29_24 Depth=1
	s_or_b32 exec_lo, exec_lo, s19
	v_mov_b32_e32 v31, 0
	s_waitcnt lgkmcnt(0)
	s_barrier
	buffer_gl0_inv
	s_and_saveexec_b32 s19, s1
	s_cbranch_execz .LBB29_38
; %bb.37:                               ;   in Loop: Header=BB29_24 Depth=1
	ds_load_b32 v31, v22 offset:4124
.LBB29_38:                              ;   in Loop: Header=BB29_24 Depth=1
	s_or_b32 exec_lo, exec_lo, s19
	s_waitcnt lgkmcnt(0)
	v_add_nc_u32_e32 v4, v31, v4
	ds_load_b32 v32, v28 offset:4144
	s_cmp_gt_u32 s20, 59
	ds_bpermute_b32 v4, v24, v4
	s_waitcnt lgkmcnt(0)
	v_cndmask_b32_e64 v4, v4, v31, s2
	s_delay_alu instid0(VALU_DEP_1) | instskip(NEXT) | instid1(VALU_DEP_1)
	v_lshl_add_u32 v4, v32, 16, v4
	v_add_nc_u32_e32 v5, v4, v5
	s_delay_alu instid0(VALU_DEP_1) | instskip(NEXT) | instid1(VALU_DEP_1)
	v_add_nc_u32_e32 v6, v5, v6
	v_add_nc_u32_e32 v7, v6, v7
	s_delay_alu instid0(VALU_DEP_1) | instskip(NEXT) | instid1(VALU_DEP_1)
	v_add_nc_u32_e32 v31, v7, v8
	;; [unrolled: 3-line block ×3, first 2 shown]
	v_add_nc_u32_e32 v2, v1, v3
	v_and_b32_e32 v3, 0xffff, v13
	ds_store_2addr_b64 v19, v[4:5], v[6:7] offset1:1
	ds_store_2addr_b64 v19, v[31:32], v[1:2] offset0:2 offset1:3
	s_waitcnt lgkmcnt(0)
	s_barrier
	buffer_gl0_inv
	ds_load_u16 v1, v14
	ds_load_u16 v2, v29
	v_and_b32_e32 v4, 0xffff, v30
	s_waitcnt lgkmcnt(0)
	v_add_nc_u32_e32 v1, v1, v3
	s_delay_alu instid0(VALU_DEP_2) | instskip(NEXT) | instid1(VALU_DEP_2)
	v_add_nc_u32_e32 v2, v2, v4
	v_lshlrev_b32_e32 v3, 2, v1
	s_delay_alu instid0(VALU_DEP_2) | instskip(SKIP_2) | instid1(VALU_DEP_4)
	v_lshlrev_b32_e32 v4, 2, v2
	v_lshlrev_b32_e32 v30, 3, v1
	;; [unrolled: 1-line block ×3, first 2 shown]
	v_sub_nc_u32_e32 v32, 0, v3
	s_delay_alu instid0(VALU_DEP_4)
	v_sub_nc_u32_e32 v31, 0, v4
	s_cbranch_scc0 .LBB29_23
; %bb.39:
                                        ; implicit-def: $vgpr14
                                        ; implicit-def: $sgpr20
                                        ; implicit-def: $vgpr1
                                        ; implicit-def: $sgpr21
                                        ; implicit-def: $sgpr22
.LBB29_40:
	s_barrier
	buffer_gl0_inv
	ds_store_b64 v30, v[17:18]
	ds_store_b64 v29, v[15:16]
	s_waitcnt lgkmcnt(0)
	s_barrier
	buffer_gl0_inv
	ds_load_2addr_b64 v[5:8], v21 offset1:1
	v_add_nc_u32_e32 v0, v30, v32
	v_add_nc_u32_e32 v1, v29, v31
	s_waitcnt lgkmcnt(0)
	s_barrier
	buffer_gl0_inv
	ds_store_b32 v0, v26
	ds_store_b32 v1, v25
	s_waitcnt lgkmcnt(0)
	s_barrier
.LBB29_41:
	v_cmp_gt_i32_e32 vcc_lo, 0, v5
	s_waitcnt vmcnt(0)
	buffer_gl0_inv
	ds_load_b64 v[13:14], v20
	v_cndmask_b32_e64 v0, 0x7fffffff, 0, vcc_lo
	v_cmp_gt_i32_e32 vcc_lo, 0, v6
	s_delay_alu instid0(VALU_DEP_2) | instskip(SKIP_2) | instid1(VALU_DEP_2)
	v_xor_b32_e32 v0, v0, v5
	v_cndmask_b32_e64 v1, 0x7fffffff, 0, vcc_lo
	v_cmp_gt_i32_e32 vcc_lo, 0, v7
	v_xor_b32_e32 v1, v1, v6
	v_cndmask_b32_e64 v2, 0x7fffffff, 0, vcc_lo
	v_cmp_gt_i32_e32 vcc_lo, 0, v8
	s_delay_alu instid0(VALU_DEP_2) | instskip(SKIP_1) | instid1(VALU_DEP_1)
	v_xor_b32_e32 v2, v2, v7
	v_cndmask_b32_e64 v3, 0x7fffffff, 0, vcc_lo
	v_xor_b32_e32 v3, v3, v8
	global_store_b128 v[9:10], v[0:3], off
	s_waitcnt lgkmcnt(0)
	global_store_b64 v[11:12], v[13:14], off
	s_nop 0
	s_sendmsg sendmsg(MSG_DEALLOC_VGPRS)
	s_endpgm
	.section	.rodata,"a",@progbits
	.p2align	6, 0x0
	.amdhsa_kernel _Z21sort_key_value_kernelILj129ELj2ELb0ELb1EN10test_utils16custom_test_typeIfEEiEvPT3_PT4_jj
		.amdhsa_group_segment_fixed_size 4160
		.amdhsa_private_segment_fixed_size 0
		.amdhsa_kernarg_size 24
		.amdhsa_user_sgpr_count 15
		.amdhsa_user_sgpr_dispatch_ptr 0
		.amdhsa_user_sgpr_queue_ptr 0
		.amdhsa_user_sgpr_kernarg_segment_ptr 1
		.amdhsa_user_sgpr_dispatch_id 0
		.amdhsa_user_sgpr_private_segment_size 0
		.amdhsa_wavefront_size32 1
		.amdhsa_uses_dynamic_stack 0
		.amdhsa_enable_private_segment 0
		.amdhsa_system_sgpr_workgroup_id_x 1
		.amdhsa_system_sgpr_workgroup_id_y 0
		.amdhsa_system_sgpr_workgroup_id_z 0
		.amdhsa_system_sgpr_workgroup_info 0
		.amdhsa_system_vgpr_workitem_id 0
		.amdhsa_next_free_vgpr 37
		.amdhsa_next_free_sgpr 36
		.amdhsa_reserve_vcc 1
		.amdhsa_float_round_mode_32 0
		.amdhsa_float_round_mode_16_64 0
		.amdhsa_float_denorm_mode_32 3
		.amdhsa_float_denorm_mode_16_64 3
		.amdhsa_dx10_clamp 1
		.amdhsa_ieee_mode 1
		.amdhsa_fp16_overflow 0
		.amdhsa_workgroup_processor_mode 1
		.amdhsa_memory_ordered 1
		.amdhsa_forward_progress 0
		.amdhsa_shared_vgpr_count 0
		.amdhsa_exception_fp_ieee_invalid_op 0
		.amdhsa_exception_fp_denorm_src 0
		.amdhsa_exception_fp_ieee_div_zero 0
		.amdhsa_exception_fp_ieee_overflow 0
		.amdhsa_exception_fp_ieee_underflow 0
		.amdhsa_exception_fp_ieee_inexact 0
		.amdhsa_exception_int_div_zero 0
	.end_amdhsa_kernel
	.section	.text._Z21sort_key_value_kernelILj129ELj2ELb0ELb1EN10test_utils16custom_test_typeIfEEiEvPT3_PT4_jj,"axG",@progbits,_Z21sort_key_value_kernelILj129ELj2ELb0ELb1EN10test_utils16custom_test_typeIfEEiEvPT3_PT4_jj,comdat
.Lfunc_end29:
	.size	_Z21sort_key_value_kernelILj129ELj2ELb0ELb1EN10test_utils16custom_test_typeIfEEiEvPT3_PT4_jj, .Lfunc_end29-_Z21sort_key_value_kernelILj129ELj2ELb0ELb1EN10test_utils16custom_test_typeIfEEiEvPT3_PT4_jj
                                        ; -- End function
	.section	.AMDGPU.csdata,"",@progbits
; Kernel info:
; codeLenInByte = 3556
; NumSgprs: 38
; NumVgprs: 37
; ScratchSize: 0
; MemoryBound: 0
; FloatMode: 240
; IeeeMode: 1
; LDSByteSize: 4160 bytes/workgroup (compile time only)
; SGPRBlocks: 4
; VGPRBlocks: 4
; NumSGPRsForWavesPerEU: 38
; NumVGPRsForWavesPerEU: 37
; Occupancy: 15
; WaveLimiterHint : 0
; COMPUTE_PGM_RSRC2:SCRATCH_EN: 0
; COMPUTE_PGM_RSRC2:USER_SGPR: 15
; COMPUTE_PGM_RSRC2:TRAP_HANDLER: 0
; COMPUTE_PGM_RSRC2:TGID_X_EN: 1
; COMPUTE_PGM_RSRC2:TGID_Y_EN: 0
; COMPUTE_PGM_RSRC2:TGID_Z_EN: 0
; COMPUTE_PGM_RSRC2:TIDIG_COMP_CNT: 0
	.section	.text._Z21sort_key_value_kernelILj128ELj4ELb0ELb0EN10test_utils16custom_test_typeIsEEiEvPT3_PT4_jj,"axG",@progbits,_Z21sort_key_value_kernelILj128ELj4ELb0ELb0EN10test_utils16custom_test_typeIsEEiEvPT3_PT4_jj,comdat
	.protected	_Z21sort_key_value_kernelILj128ELj4ELb0ELb0EN10test_utils16custom_test_typeIsEEiEvPT3_PT4_jj ; -- Begin function _Z21sort_key_value_kernelILj128ELj4ELb0ELb0EN10test_utils16custom_test_typeIsEEiEvPT3_PT4_jj
	.globl	_Z21sort_key_value_kernelILj128ELj4ELb0ELb0EN10test_utils16custom_test_typeIsEEiEvPT3_PT4_jj
	.p2align	8
	.type	_Z21sort_key_value_kernelILj128ELj4ELb0ELb0EN10test_utils16custom_test_typeIsEEiEvPT3_PT4_jj,@function
_Z21sort_key_value_kernelILj128ELj4ELb0ELb0EN10test_utils16custom_test_typeIsEEiEvPT3_PT4_jj: ; @_Z21sort_key_value_kernelILj128ELj4ELb0ELb0EN10test_utils16custom_test_typeIsEEiEvPT3_PT4_jj
; %bb.0:
	s_clause 0x1
	s_load_b128 s[4:7], s[0:1], 0x0
	s_load_b64 s[24:25], s[0:1], 0x10
	v_and_b32_e32 v13, 0x3ff, v0
	s_mov_b32 s19, 0
	s_lshl_b32 s18, s15, 9
	v_mbcnt_lo_u32_b32 v18, -1, 0
	s_lshl_b64 s[2:3], s[18:19], 2
	v_lshlrev_b32_e32 v31, 4, v13
	v_lshlrev_b32_e32 v21, 2, v13
	v_bfe_u32 v28, v0, 10, 10
	v_lshrrev_b32_e32 v9, 2, v18
	v_and_b32_e32 v23, 3, v18
	v_and_b32_e32 v30, 28, v18
	v_bfe_u32 v29, v0, 20, 10
	v_and_b32_e32 v26, 15, v18
	v_lshlrev_b32_e32 v32, 2, v9
	v_and_b32_e32 v24, 16, v18
	v_add_nc_u32_e32 v19, -1, v18
	v_or_b32_e32 v33, 32, v30
	v_lshlrev_b32_e32 v22, 5, v13
	s_waitcnt lgkmcnt(0)
	s_add_u32 s20, s4, s2
	s_addc_u32 s21, s5, s3
	s_add_u32 s22, s6, s2
	global_load_b128 v[5:8], v31, s[20:21]
	s_addc_u32 s23, s7, s3
	s_cmp_lg_u32 s24, 0
	global_load_b128 v[1:4], v31, s[22:23]
	s_cselect_b32 s11, -1, 0
	s_cmp_lg_u32 s25, 32
	v_cmp_eq_u32_e64 s6, 0, v18
	s_cselect_b32 s12, -1, 0
	v_cmp_eq_u32_e64 s2, 0, v23
	v_cmp_eq_u32_e64 s5, 1, v23
	;; [unrolled: 1-line block ×4, first 2 shown]
	v_and_b32_e32 v0, 0x3e0, v13
	v_cmp_gt_u32_e64 s7, 4, v13
	v_cmp_lt_u32_e64 s8, 31, v13
	v_cmp_eq_u32_e64 s9, 0, v13
	v_lshrrev_b32_e32 v27, 3, v13
	v_mul_i32_i24_e32 v25, 0xffffffe4, v13
	v_cmp_lt_u32_e64 s10, 1, v23
	v_and_or_b32 v20, 0xf80, v21, v18
	s_or_b32 s11, s11, s12
	s_delay_alu instid0(SALU_CYCLE_1)
	s_and_b32 vcc_lo, exec_lo, s11
	s_mov_b32 s11, -1
	s_waitcnt vmcnt(1)
	v_lshrrev_b32_e32 v9, 16, v5
	v_lshrrev_b32_e32 v10, 16, v6
	;; [unrolled: 1-line block ×4, first 2 shown]
	v_xor_b32_e32 v5, 0xffff8000, v5
	v_xor_b32_e32 v6, 0xffff8000, v6
	;; [unrolled: 1-line block ×8, first 2 shown]
	v_and_b32_e32 v5, 0xffff, v5
	v_and_b32_e32 v6, 0xffff, v6
	;; [unrolled: 1-line block ×4, first 2 shown]
	v_lshlrev_b32_e32 v9, 16, v9
	v_lshlrev_b32_e32 v10, 16, v10
	;; [unrolled: 1-line block ×4, first 2 shown]
	s_delay_alu instid0(VALU_DEP_4) | instskip(NEXT) | instid1(VALU_DEP_4)
	v_or_b32_e32 v34, v9, v5
	v_or_b32_e32 v35, v10, v6
	s_delay_alu instid0(VALU_DEP_4) | instskip(NEXT) | instid1(VALU_DEP_4)
	v_or_b32_e32 v36, v11, v7
	v_or_b32_e32 v37, v12, v8
	s_cbranch_vccz .LBB30_20
; %bb.1:
	ds_bpermute_b32 v5, v30, v34
	ds_bpermute_b32 v9, v33, v34
	;; [unrolled: 1-line block ×3, first 2 shown]
	ds_bpermute_b32 v14, v30, v34 offset:64
	ds_bpermute_b32 v10, v33, v35
	ds_bpermute_b32 v7, v30, v36
	ds_bpermute_b32 v15, v30, v35 offset:64
	ds_bpermute_b32 v17, v32, v34 offset:96
	ds_bpermute_b32 v11, v33, v36
	ds_bpermute_b32 v16, v30, v36 offset:64
	ds_bpermute_b32 v39, v32, v35 offset:96
	ds_bpermute_b32 v38, v30, v37 offset:64
	ds_bpermute_b32 v40, v32, v36 offset:96
	s_mov_b32 s18, s19
	ds_bpermute_b32 v8, v30, v37
	ds_bpermute_b32 v12, v33, v37
	s_mov_b32 s26, s19
	s_mov_b32 s27, s19
	v_cmp_gt_i32_e32 vcc_lo, 0, v19
	s_waitcnt vmcnt(0) lgkmcnt(0)
	v_and_b32_e32 v41, 0xffff0000, v5
	v_and_b32_e32 v45, 0xffff0000, v9
	v_cndmask_b32_e64 v9, 0, v9, s2
	v_cndmask_b32_e64 v5, 0, v5, s2
	v_and_b32_e32 v42, 0xffff0000, v6
	v_cndmask_b32_e64 v41, 0, v41, s2
	v_and_b32_e32 v49, 0xffff0000, v14
	;; [unrolled: 2-line block ×3, first 2 shown]
	v_and_b32_e32 v46, 0xffff0000, v10
	v_and_b32_e32 v50, 0xffff0000, v15
	v_cndmask_b32_e64 v5, v5, v6, s5
	v_cndmask_b32_e64 v41, v41, v42, s5
	v_and_b32_e32 v42, 0xffff0000, v17
	v_cndmask_b32_e64 v10, 0, v49, s2
	v_and_b32_e32 v47, 0xffff0000, v11
	v_cndmask_b32_e64 v9, v9, v11, s4
	v_cndmask_b32_e64 v11, 0, v14, s2
	;; [unrolled: 1-line block ×5, first 2 shown]
	v_and_b32_e32 v14, 0xffff0000, v16
	v_cndmask_b32_e64 v41, 0, v42, s2
	v_and_b32_e32 v42, 0xffff0000, v39
	v_cndmask_b32_e64 v11, v11, v15, s5
	v_cndmask_b32_e64 v15, 0, v17, s2
	;; [unrolled: 1-line block ×4, first 2 shown]
	v_and_b32_e32 v14, 0xffff0000, v38
	v_cndmask_b32_e64 v17, v41, v42, s5
	v_and_b32_e32 v41, 0xffff0000, v40
	v_and_b32_e32 v44, 0xffff0000, v8
	;; [unrolled: 1-line block ×3, first 2 shown]
	v_cndmask_b32_e64 v5, v5, v8, s3
	ds_bpermute_b32 v8, v32, v37 offset:96
	v_cndmask_b32_e64 v9, v9, v12, s3
	v_cndmask_b32_e64 v11, v11, v16, s4
	;; [unrolled: 1-line block ×3, first 2 shown]
	ds_bpermute_b32 v15, v30, v1
	ds_bpermute_b32 v16, v30, v2
	v_cndmask_b32_e64 v6, v6, v46, s5
	v_cndmask_b32_e64 v10, v10, v14, s3
	;; [unrolled: 1-line block ×3, first 2 shown]
	ds_bpermute_b32 v41, v33, v1
	ds_bpermute_b32 v42, v33, v2
	s_waitcnt lgkmcnt(0)
	s_barrier
	buffer_gl0_inv
	s_load_b32 s11, s[0:1], 0x24
	v_cndmask_b32_e64 v6, v6, v47, s4
	ds_bpermute_b32 v39, v30, v3
	ds_bpermute_b32 v47, v33, v3
	v_cndmask_b32_e64 v12, v12, v40, s4
	v_cndmask_b32_e64 v7, v7, v44, s3
	ds_bpermute_b32 v43, v30, v1 offset:64
	ds_bpermute_b32 v44, v30, v2 offset:64
	;; [unrolled: 1-line block ×4, first 2 shown]
	v_cndmask_b32_e64 v6, v6, v48, s3
	v_and_b32_e32 v17, 0xffff0000, v8
	v_cndmask_b32_e64 v11, v11, v38, s3
	v_cndmask_b32_e64 v8, v12, v8, s3
	;; [unrolled: 1-line block ×3, first 2 shown]
	ds_bpermute_b32 v16, v30, v4
	ds_bpermute_b32 v38, v33, v4
	ds_bpermute_b32 v40, v30, v3 offset:64
	ds_bpermute_b32 v48, v32, v3 offset:96
	v_and_or_b32 v6, 0xffff, v9, v6
	v_cndmask_b32_e64 v9, v41, v42, s5
	s_waitcnt lgkmcnt(0)
	s_lshr_b32 s12, s11, 16
	ds_bpermute_b32 v49, v30, v4 offset:64
	ds_bpermute_b32 v50, v32, v4 offset:96
	v_and_or_b32 v5, 0xffff, v5, v7
	v_and_or_b32 v7, 0xffff, v11, v10
	v_cndmask_b32_e64 v10, v12, v39, s4
	v_cndmask_b32_e64 v39, v9, v47, s4
	v_mad_u32_u24 v9, v29, s12, v28
	s_and_b32 s11, s11, 0xffff
	v_cndmask_b32_e64 v17, v14, v17, s3
	v_cndmask_b32_e64 v11, v43, v44, s5
	;; [unrolled: 1-line block ×3, first 2 shown]
	v_mad_u64_u32 v[14:15], null, v9, s11, v[13:14]
	v_min_u32_e32 v15, 0x60, v0
	v_cndmask_b32_e64 v9, v10, v16, s3
	v_cndmask_b32_e64 v10, v39, v38, s3
	;; [unrolled: 1-line block ×4, first 2 shown]
	v_and_b32_e32 v40, 0x7c, v27
	v_lshrrev_b32_e32 v39, 5, v14
	v_or_b32_e32 v14, 31, v15
	v_cndmask_b32_e32 v15, v19, v18, vcc_lo
	v_and_or_b32 v8, 0xffff, v8, v17
	v_mov_b32_e32 v16, s26
	s_waitcnt lgkmcnt(1)
	v_cndmask_b32_e64 v11, v11, v49, s3
	v_cmp_eq_u32_e64 s16, v14, v13
	v_dual_mov_b32 v14, s18 :: v_dual_lshlrev_b32 v41, 2, v15
	s_waitcnt lgkmcnt(0)
	v_cndmask_b32_e64 v12, v12, v50, s3
	v_or_b32_e32 v38, 16, v22
	v_cmp_eq_u32_e64 s11, 0, v26
	v_cmp_lt_u32_e64 s12, 1, v26
	v_cmp_lt_u32_e64 s13, 3, v26
	;; [unrolled: 1-line block ×3, first 2 shown]
	v_cmp_eq_u32_e64 s15, 0, v24
	v_add_nc_u32_e32 v42, -4, v40
	v_lshlrev_b32_e32 v43, 2, v20
	v_mov_b32_e32 v15, s19
	v_dual_mov_b32 v17, s27 :: v_dual_add_nc_u32 v44, v22, v25
	s_sub_i32 s26, 0, s24
	s_sub_i32 s27, s25, s24
	s_branch .LBB30_3
.LBB30_2:                               ;   in Loop: Header=BB30_3 Depth=1
	s_barrier
	buffer_gl0_inv
	ds_store_b32 v53, v45
	ds_store_b32 v54, v52
	ds_store_b32 v55, v51
	ds_store_b32 v56, v50
	s_waitcnt lgkmcnt(0)
	s_barrier
	buffer_gl0_inv
	ds_load_2addr_b32 v[5:6], v43 offset1:32
	ds_load_2addr_b32 v[7:8], v43 offset0:64 offset1:96
	s_waitcnt lgkmcnt(0)
	s_barrier
	buffer_gl0_inv
	ds_store_b32 v53, v49
	ds_store_b32 v54, v48
	;; [unrolled: 1-line block ×4, first 2 shown]
	s_waitcnt lgkmcnt(0)
	s_barrier
	buffer_gl0_inv
	ds_load_2addr_b32 v[9:10], v43 offset1:32
	ds_load_2addr_b32 v[11:12], v43 offset0:64 offset1:96
	s_add_i32 s26, s26, -8
	s_add_i32 s27, s27, -8
	s_waitcnt lgkmcnt(0)
	s_barrier
	buffer_gl0_inv
	s_cbranch_execz .LBB30_19
.LBB30_3:                               ; =>This Inner Loop Header: Depth=1
	s_max_i32 s29, s24, 0
	s_max_i32 s28, s26, 0
	s_add_i32 s17, s29, s26
	s_add_i32 s18, s25, s26
	s_min_u32 s19, s27, 8
	s_sub_i32 s17, s17, s28
	s_min_u32 s18, s18, 8
	s_add_i32 s19, s19, s24
	s_cmp_lt_i32 s24, 16
	ds_store_2addr_b64 v22, v[14:15], v[16:17] offset0:2 offset1:3
	ds_store_2addr_b64 v38, v[14:15], v[16:17] offset0:2 offset1:3
	s_cselect_b32 s30, -1, 0
	s_cmp_gt_i32 s19, 0
	s_waitcnt lgkmcnt(0)
	s_cselect_b32 s31, -1, 0
	s_barrier
	s_and_b32 vcc_lo, s30, s31
	s_cmp_lt_i32 s24, 32
	buffer_gl0_inv
	s_cselect_b32 s35, -1, 0
	s_cmp_gt_i32 s19, 16
	s_cselect_b32 s36, -1, 0
	s_max_i32 s31, s24, 16
	s_add_i32 s17, s17, s19
	s_add_i32 s19, s26, 16
	s_add_i32 s31, s31, -16
	s_max_i32 s30, s19, 0
	s_add_i32 s18, s31, s18
	s_min_i32 s17, s17, 16
	s_sub_i32 s18, s18, s30
	s_sub_i32 s17, s17, s29
	s_min_i32 s18, s18, 16
	s_lshl_b32 s17, -1, s17
	s_sub_i32 s18, s18, s31
	s_not_b32 s33, s17
	s_lshl_b32 s18, -1, s18
	s_and_b32 s17, s35, s36
	s_not_b32 s34, s18
	v_mov_b32_e32 v45, v5
	; wave barrier
	s_delay_alu instid0(VALU_DEP_1) | instskip(NEXT) | instid1(VALU_DEP_1)
	v_and_b32_e32 v46, 0xffff, v45
	v_lshrrev_b32_e32 v46, s31, v46
	s_delay_alu instid0(VALU_DEP_1) | instskip(SKIP_1) | instid1(VALU_DEP_1)
	v_and_b32_e32 v46, s34, v46
	v_lshrrev_b32_e32 v5, 16, v45
	v_lshrrev_b32_e32 v5, s29, v5
	s_delay_alu instid0(VALU_DEP_1) | instskip(NEXT) | instid1(VALU_DEP_1)
	v_and_b32_e32 v5, s33, v5
	v_lshlrev_b32_e32 v5, s28, v5
	s_delay_alu instid0(VALU_DEP_1) | instskip(NEXT) | instid1(VALU_DEP_1)
	v_dual_cndmask_b32 v5, 0, v5 :: v_dual_lshlrev_b32 v46, s30, v46
	v_cndmask_b32_e64 v46, 0, v46, s17
	s_delay_alu instid0(VALU_DEP_1) | instskip(NEXT) | instid1(VALU_DEP_1)
	v_or_b32_e32 v54, v5, v46
	v_and_b32_e32 v5, 1, v54
	v_lshlrev_b32_e32 v46, 30, v54
	v_lshlrev_b32_e32 v47, 29, v54
	;; [unrolled: 1-line block ×4, first 2 shown]
	v_add_co_u32 v5, s18, v5, -1
	s_delay_alu instid0(VALU_DEP_1)
	v_cndmask_b32_e64 v49, 0, 1, s18
	v_not_b32_e32 v53, v46
	v_cmp_gt_i32_e64 s19, 0, v46
	v_not_b32_e32 v46, v47
	v_lshlrev_b32_e32 v51, 26, v54
	v_cmp_ne_u32_e64 s18, 0, v49
	v_ashrrev_i32_e32 v53, 31, v53
	v_lshlrev_b32_e32 v52, 25, v54
	v_ashrrev_i32_e32 v46, 31, v46
	v_lshlrev_b32_e32 v49, 24, v54
	v_xor_b32_e32 v5, s18, v5
	v_cmp_gt_i32_e64 s18, 0, v47
	v_not_b32_e32 v47, v48
	v_xor_b32_e32 v53, s19, v53
	v_cmp_gt_i32_e64 s19, 0, v48
	v_and_b32_e32 v5, exec_lo, v5
	v_not_b32_e32 v48, v50
	v_ashrrev_i32_e32 v47, 31, v47
	v_xor_b32_e32 v46, s18, v46
	v_cmp_gt_i32_e64 s18, 0, v50
	v_and_b32_e32 v5, v5, v53
	v_not_b32_e32 v50, v51
	v_ashrrev_i32_e32 v48, 31, v48
	v_xor_b32_e32 v47, s19, v47
	v_cmp_gt_i32_e64 s19, 0, v51
	v_mov_b32_e32 v51, v7
	v_and_b32_e32 v5, v5, v46
	v_not_b32_e32 v46, v52
	v_ashrrev_i32_e32 v50, 31, v50
	v_xor_b32_e32 v48, s18, v48
	v_cmp_gt_i32_e64 s18, 0, v52
	v_and_b32_e32 v5, v5, v47
	v_not_b32_e32 v47, v49
	v_ashrrev_i32_e32 v46, 31, v46
	v_xor_b32_e32 v50, s19, v50
	v_cmp_gt_i32_e64 s19, 0, v49
	v_and_b32_e32 v5, v5, v48
	v_ashrrev_i32_e32 v47, 31, v47
	v_xor_b32_e32 v46, s18, v46
	v_mov_b32_e32 v52, v6
	v_lshl_add_u32 v6, v54, 2, v39
	v_and_b32_e32 v5, v5, v50
	v_xor_b32_e32 v49, s19, v47
	v_dual_mov_b32 v47, v11 :: v_dual_mov_b32 v48, v10
	s_delay_alu instid0(VALU_DEP_3) | instskip(SKIP_2) | instid1(VALU_DEP_3)
	v_dual_mov_b32 v50, v8 :: v_dual_and_b32 v5, v5, v46
	v_mov_b32_e32 v46, v12
	v_lshl_add_u32 v54, v6, 2, 16
	v_and_b32_e32 v5, v5, v49
	v_mov_b32_e32 v49, v9
	s_delay_alu instid0(VALU_DEP_2) | instskip(SKIP_1) | instid1(VALU_DEP_2)
	v_mbcnt_lo_u32_b32 v53, v5, 0
	v_cmp_ne_u32_e64 s19, 0, v5
	v_cmp_eq_u32_e64 s18, 0, v53
	s_delay_alu instid0(VALU_DEP_1) | instskip(NEXT) | instid1(SALU_CYCLE_1)
	s_and_b32 s19, s18, s19
	s_and_saveexec_b32 s18, s19
	s_cbranch_execz .LBB30_5
; %bb.4:                                ;   in Loop: Header=BB30_3 Depth=1
	v_bcnt_u32_b32 v5, v5, 0
	ds_store_b32 v54, v5
.LBB30_5:                               ;   in Loop: Header=BB30_3 Depth=1
	s_or_b32 exec_lo, exec_lo, s18
	v_lshrrev_b32_e32 v5, 16, v52
	; wave barrier
	s_delay_alu instid0(VALU_DEP_1) | instskip(NEXT) | instid1(VALU_DEP_1)
	v_lshrrev_b32_e32 v5, s29, v5
	v_and_b32_e32 v5, s33, v5
	s_delay_alu instid0(VALU_DEP_1) | instskip(NEXT) | instid1(VALU_DEP_1)
	v_lshlrev_b32_e32 v5, s28, v5
	v_dual_cndmask_b32 v5, 0, v5 :: v_dual_and_b32 v6, 0xffff, v52
	s_delay_alu instid0(VALU_DEP_1) | instskip(NEXT) | instid1(VALU_DEP_1)
	v_lshrrev_b32_e32 v6, s31, v6
	v_and_b32_e32 v6, s34, v6
	s_delay_alu instid0(VALU_DEP_1) | instskip(NEXT) | instid1(VALU_DEP_1)
	v_lshlrev_b32_e32 v6, s30, v6
	v_cndmask_b32_e64 v6, 0, v6, s17
	s_delay_alu instid0(VALU_DEP_1) | instskip(NEXT) | instid1(VALU_DEP_1)
	v_or_b32_e32 v5, v5, v6
	v_and_b32_e32 v6, 1, v5
	v_lshlrev_b32_e32 v7, 30, v5
	v_lshlrev_b32_e32 v8, 29, v5
	;; [unrolled: 1-line block ×4, first 2 shown]
	v_add_co_u32 v6, s18, v6, -1
	s_delay_alu instid0(VALU_DEP_1)
	v_cndmask_b32_e64 v10, 0, 1, s18
	v_not_b32_e32 v56, v7
	v_cmp_gt_i32_e64 s19, 0, v7
	v_not_b32_e32 v7, v8
	v_lshlrev_b32_e32 v12, 26, v5
	v_cmp_ne_u32_e64 s18, 0, v10
	v_ashrrev_i32_e32 v56, 31, v56
	v_lshlrev_b32_e32 v55, 25, v5
	v_ashrrev_i32_e32 v7, 31, v7
	v_lshlrev_b32_e32 v10, 24, v5
	v_xor_b32_e32 v6, s18, v6
	v_cmp_gt_i32_e64 s18, 0, v8
	v_not_b32_e32 v8, v9
	v_xor_b32_e32 v56, s19, v56
	v_cmp_gt_i32_e64 s19, 0, v9
	v_and_b32_e32 v6, exec_lo, v6
	v_not_b32_e32 v9, v11
	v_ashrrev_i32_e32 v8, 31, v8
	v_xor_b32_e32 v7, s18, v7
	v_cmp_gt_i32_e64 s18, 0, v11
	v_and_b32_e32 v6, v6, v56
	v_not_b32_e32 v11, v12
	v_ashrrev_i32_e32 v9, 31, v9
	v_xor_b32_e32 v8, s19, v8
	v_cmp_gt_i32_e64 s19, 0, v12
	v_and_b32_e32 v6, v6, v7
	v_not_b32_e32 v7, v55
	v_ashrrev_i32_e32 v11, 31, v11
	v_xor_b32_e32 v9, s18, v9
	v_cmp_gt_i32_e64 s18, 0, v55
	v_and_b32_e32 v6, v6, v8
	v_not_b32_e32 v8, v10
	v_ashrrev_i32_e32 v7, 31, v7
	v_xor_b32_e32 v11, s19, v11
	v_lshlrev_b32_e32 v5, 2, v5
	v_and_b32_e32 v6, v6, v9
	v_cmp_gt_i32_e64 s19, 0, v10
	v_ashrrev_i32_e32 v8, 31, v8
	v_xor_b32_e32 v7, s18, v7
	v_add_lshl_u32 v9, v5, v39, 2
	v_and_b32_e32 v6, v6, v11
	s_delay_alu instid0(VALU_DEP_4) | instskip(SKIP_3) | instid1(VALU_DEP_2)
	v_xor_b32_e32 v5, s19, v8
	ds_load_b32 v55, v9 offset:16
	v_and_b32_e32 v6, v6, v7
	v_add_nc_u32_e32 v57, 16, v9
	; wave barrier
	v_and_b32_e32 v5, v6, v5
	s_delay_alu instid0(VALU_DEP_1) | instskip(SKIP_1) | instid1(VALU_DEP_2)
	v_mbcnt_lo_u32_b32 v56, v5, 0
	v_cmp_ne_u32_e64 s19, 0, v5
	v_cmp_eq_u32_e64 s18, 0, v56
	s_delay_alu instid0(VALU_DEP_1) | instskip(NEXT) | instid1(SALU_CYCLE_1)
	s_and_b32 s19, s18, s19
	s_and_saveexec_b32 s18, s19
	s_cbranch_execz .LBB30_7
; %bb.6:                                ;   in Loop: Header=BB30_3 Depth=1
	s_waitcnt lgkmcnt(0)
	v_bcnt_u32_b32 v5, v5, v55
	ds_store_b32 v57, v5
.LBB30_7:                               ;   in Loop: Header=BB30_3 Depth=1
	s_or_b32 exec_lo, exec_lo, s18
	v_lshrrev_b32_e32 v5, 16, v51
	; wave barrier
	s_delay_alu instid0(VALU_DEP_1) | instskip(NEXT) | instid1(VALU_DEP_1)
	v_lshrrev_b32_e32 v5, s29, v5
	v_and_b32_e32 v5, s33, v5
	s_delay_alu instid0(VALU_DEP_1) | instskip(NEXT) | instid1(VALU_DEP_1)
	v_lshlrev_b32_e32 v5, s28, v5
	v_dual_cndmask_b32 v5, 0, v5 :: v_dual_and_b32 v6, 0xffff, v51
	s_delay_alu instid0(VALU_DEP_1) | instskip(NEXT) | instid1(VALU_DEP_1)
	v_lshrrev_b32_e32 v6, s31, v6
	v_and_b32_e32 v6, s34, v6
	s_delay_alu instid0(VALU_DEP_1) | instskip(NEXT) | instid1(VALU_DEP_1)
	v_lshlrev_b32_e32 v6, s30, v6
	v_cndmask_b32_e64 v6, 0, v6, s17
	s_delay_alu instid0(VALU_DEP_1) | instskip(NEXT) | instid1(VALU_DEP_1)
	v_or_b32_e32 v5, v5, v6
	v_and_b32_e32 v6, 1, v5
	v_lshlrev_b32_e32 v7, 30, v5
	v_lshlrev_b32_e32 v8, 29, v5
	;; [unrolled: 1-line block ×4, first 2 shown]
	v_add_co_u32 v6, s18, v6, -1
	s_delay_alu instid0(VALU_DEP_1)
	v_cndmask_b32_e64 v10, 0, 1, s18
	v_not_b32_e32 v59, v7
	v_cmp_gt_i32_e64 s19, 0, v7
	v_not_b32_e32 v7, v8
	v_lshlrev_b32_e32 v12, 26, v5
	v_cmp_ne_u32_e64 s18, 0, v10
	v_ashrrev_i32_e32 v59, 31, v59
	v_lshlrev_b32_e32 v58, 25, v5
	v_ashrrev_i32_e32 v7, 31, v7
	v_lshlrev_b32_e32 v10, 24, v5
	v_xor_b32_e32 v6, s18, v6
	v_cmp_gt_i32_e64 s18, 0, v8
	v_not_b32_e32 v8, v9
	v_xor_b32_e32 v59, s19, v59
	v_cmp_gt_i32_e64 s19, 0, v9
	v_and_b32_e32 v6, exec_lo, v6
	v_not_b32_e32 v9, v11
	v_ashrrev_i32_e32 v8, 31, v8
	v_xor_b32_e32 v7, s18, v7
	v_cmp_gt_i32_e64 s18, 0, v11
	v_and_b32_e32 v6, v6, v59
	v_not_b32_e32 v11, v12
	v_ashrrev_i32_e32 v9, 31, v9
	v_xor_b32_e32 v8, s19, v8
	v_cmp_gt_i32_e64 s19, 0, v12
	v_and_b32_e32 v6, v6, v7
	;; [unrolled: 5-line block ×3, first 2 shown]
	v_not_b32_e32 v8, v10
	v_ashrrev_i32_e32 v7, 31, v7
	v_xor_b32_e32 v11, s19, v11
	v_lshlrev_b32_e32 v5, 2, v5
	v_and_b32_e32 v6, v6, v9
	v_cmp_gt_i32_e64 s19, 0, v10
	v_ashrrev_i32_e32 v8, 31, v8
	v_xor_b32_e32 v7, s18, v7
	v_add_lshl_u32 v9, v5, v39, 2
	v_and_b32_e32 v6, v6, v11
	s_delay_alu instid0(VALU_DEP_4) | instskip(SKIP_3) | instid1(VALU_DEP_2)
	v_xor_b32_e32 v5, s19, v8
	ds_load_b32 v58, v9 offset:16
	v_and_b32_e32 v6, v6, v7
	v_add_nc_u32_e32 v60, 16, v9
	; wave barrier
	v_and_b32_e32 v5, v6, v5
	s_delay_alu instid0(VALU_DEP_1) | instskip(SKIP_1) | instid1(VALU_DEP_2)
	v_mbcnt_lo_u32_b32 v59, v5, 0
	v_cmp_ne_u32_e64 s19, 0, v5
	v_cmp_eq_u32_e64 s18, 0, v59
	s_delay_alu instid0(VALU_DEP_1) | instskip(NEXT) | instid1(SALU_CYCLE_1)
	s_and_b32 s19, s18, s19
	s_and_saveexec_b32 s18, s19
	s_cbranch_execz .LBB30_9
; %bb.8:                                ;   in Loop: Header=BB30_3 Depth=1
	s_waitcnt lgkmcnt(0)
	v_bcnt_u32_b32 v5, v5, v58
	ds_store_b32 v60, v5
.LBB30_9:                               ;   in Loop: Header=BB30_3 Depth=1
	s_or_b32 exec_lo, exec_lo, s18
	v_lshrrev_b32_e32 v5, 16, v50
	; wave barrier
	s_delay_alu instid0(VALU_DEP_1) | instskip(NEXT) | instid1(VALU_DEP_1)
	v_lshrrev_b32_e32 v5, s29, v5
	v_and_b32_e32 v5, s33, v5
	s_delay_alu instid0(VALU_DEP_1) | instskip(NEXT) | instid1(VALU_DEP_1)
	v_lshlrev_b32_e32 v5, s28, v5
	v_dual_cndmask_b32 v5, 0, v5 :: v_dual_and_b32 v6, 0xffff, v50
	s_delay_alu instid0(VALU_DEP_1) | instskip(NEXT) | instid1(VALU_DEP_1)
	v_lshrrev_b32_e32 v6, s31, v6
	v_and_b32_e32 v6, s34, v6
	s_delay_alu instid0(VALU_DEP_1) | instskip(NEXT) | instid1(VALU_DEP_1)
	v_lshlrev_b32_e32 v6, s30, v6
	v_cndmask_b32_e64 v6, 0, v6, s17
	s_delay_alu instid0(VALU_DEP_1) | instskip(NEXT) | instid1(VALU_DEP_1)
	v_or_b32_e32 v5, v5, v6
	v_and_b32_e32 v6, 1, v5
	v_lshlrev_b32_e32 v7, 30, v5
	v_lshlrev_b32_e32 v8, 29, v5
	;; [unrolled: 1-line block ×4, first 2 shown]
	v_add_co_u32 v6, s17, v6, -1
	s_delay_alu instid0(VALU_DEP_1)
	v_cndmask_b32_e64 v10, 0, 1, s17
	v_not_b32_e32 v62, v7
	v_cmp_gt_i32_e64 s17, 0, v7
	v_not_b32_e32 v7, v8
	v_lshlrev_b32_e32 v12, 26, v5
	v_cmp_ne_u32_e32 vcc_lo, 0, v10
	v_ashrrev_i32_e32 v62, 31, v62
	v_lshlrev_b32_e32 v61, 25, v5
	v_ashrrev_i32_e32 v7, 31, v7
	v_lshlrev_b32_e32 v10, 24, v5
	v_xor_b32_e32 v6, vcc_lo, v6
	v_cmp_gt_i32_e32 vcc_lo, 0, v8
	v_not_b32_e32 v8, v9
	v_xor_b32_e32 v62, s17, v62
	v_cmp_gt_i32_e64 s17, 0, v9
	v_and_b32_e32 v6, exec_lo, v6
	v_not_b32_e32 v9, v11
	v_ashrrev_i32_e32 v8, 31, v8
	v_xor_b32_e32 v7, vcc_lo, v7
	v_cmp_gt_i32_e32 vcc_lo, 0, v11
	v_and_b32_e32 v6, v6, v62
	v_not_b32_e32 v11, v12
	v_ashrrev_i32_e32 v9, 31, v9
	v_xor_b32_e32 v8, s17, v8
	v_cmp_gt_i32_e64 s17, 0, v12
	v_and_b32_e32 v6, v6, v7
	v_not_b32_e32 v7, v61
	v_ashrrev_i32_e32 v11, 31, v11
	v_xor_b32_e32 v9, vcc_lo, v9
	v_cmp_gt_i32_e32 vcc_lo, 0, v61
	v_and_b32_e32 v6, v6, v8
	v_not_b32_e32 v8, v10
	v_ashrrev_i32_e32 v7, 31, v7
	v_xor_b32_e32 v11, s17, v11
	v_lshlrev_b32_e32 v5, 2, v5
	v_and_b32_e32 v6, v6, v9
	v_cmp_gt_i32_e64 s17, 0, v10
	v_ashrrev_i32_e32 v8, 31, v8
	v_xor_b32_e32 v7, vcc_lo, v7
	v_add_lshl_u32 v9, v5, v39, 2
	v_and_b32_e32 v6, v6, v11
	s_delay_alu instid0(VALU_DEP_4) | instskip(SKIP_3) | instid1(VALU_DEP_2)
	v_xor_b32_e32 v5, s17, v8
	ds_load_b32 v61, v9 offset:16
	v_and_b32_e32 v6, v6, v7
	v_add_nc_u32_e32 v63, 16, v9
	; wave barrier
	v_and_b32_e32 v5, v6, v5
	s_delay_alu instid0(VALU_DEP_1) | instskip(SKIP_1) | instid1(VALU_DEP_2)
	v_mbcnt_lo_u32_b32 v62, v5, 0
	v_cmp_ne_u32_e64 s17, 0, v5
	v_cmp_eq_u32_e32 vcc_lo, 0, v62
	s_delay_alu instid0(VALU_DEP_2) | instskip(NEXT) | instid1(SALU_CYCLE_1)
	s_and_b32 s18, vcc_lo, s17
	s_and_saveexec_b32 s17, s18
	s_cbranch_execz .LBB30_11
; %bb.10:                               ;   in Loop: Header=BB30_3 Depth=1
	s_waitcnt lgkmcnt(0)
	v_bcnt_u32_b32 v5, v5, v61
	ds_store_b32 v63, v5
.LBB30_11:                              ;   in Loop: Header=BB30_3 Depth=1
	s_or_b32 exec_lo, exec_lo, s17
	; wave barrier
	s_waitcnt lgkmcnt(0)
	s_barrier
	buffer_gl0_inv
	ds_load_2addr_b64 v[9:12], v22 offset0:2 offset1:3
	ds_load_2addr_b64 v[5:8], v38 offset0:2 offset1:3
	s_waitcnt lgkmcnt(1)
	v_add_nc_u32_e32 v64, v10, v9
	s_delay_alu instid0(VALU_DEP_1) | instskip(SKIP_1) | instid1(VALU_DEP_1)
	v_add3_u32 v64, v64, v11, v12
	s_waitcnt lgkmcnt(0)
	v_add3_u32 v64, v64, v5, v6
	s_delay_alu instid0(VALU_DEP_1) | instskip(NEXT) | instid1(VALU_DEP_1)
	v_add3_u32 v8, v64, v7, v8
	v_mov_b32_dpp v64, v8 row_shr:1 row_mask:0xf bank_mask:0xf
	s_delay_alu instid0(VALU_DEP_1) | instskip(NEXT) | instid1(VALU_DEP_1)
	v_cndmask_b32_e64 v64, v64, 0, s11
	v_add_nc_u32_e32 v8, v64, v8
	s_delay_alu instid0(VALU_DEP_1) | instskip(NEXT) | instid1(VALU_DEP_1)
	v_mov_b32_dpp v64, v8 row_shr:2 row_mask:0xf bank_mask:0xf
	v_cndmask_b32_e64 v64, 0, v64, s12
	s_delay_alu instid0(VALU_DEP_1) | instskip(NEXT) | instid1(VALU_DEP_1)
	v_add_nc_u32_e32 v8, v8, v64
	v_mov_b32_dpp v64, v8 row_shr:4 row_mask:0xf bank_mask:0xf
	s_delay_alu instid0(VALU_DEP_1) | instskip(NEXT) | instid1(VALU_DEP_1)
	v_cndmask_b32_e64 v64, 0, v64, s13
	v_add_nc_u32_e32 v8, v8, v64
	s_delay_alu instid0(VALU_DEP_1) | instskip(NEXT) | instid1(VALU_DEP_1)
	v_mov_b32_dpp v64, v8 row_shr:8 row_mask:0xf bank_mask:0xf
	v_cndmask_b32_e64 v64, 0, v64, s14
	s_delay_alu instid0(VALU_DEP_1) | instskip(SKIP_3) | instid1(VALU_DEP_1)
	v_add_nc_u32_e32 v8, v8, v64
	ds_swizzle_b32 v64, v8 offset:swizzle(BROADCAST,32,15)
	s_waitcnt lgkmcnt(0)
	v_cndmask_b32_e64 v64, v64, 0, s15
	v_add_nc_u32_e32 v8, v8, v64
	s_and_saveexec_b32 s17, s16
	s_cbranch_execz .LBB30_13
; %bb.12:                               ;   in Loop: Header=BB30_3 Depth=1
	ds_store_b32 v40, v8
.LBB30_13:                              ;   in Loop: Header=BB30_3 Depth=1
	s_or_b32 exec_lo, exec_lo, s17
	s_waitcnt lgkmcnt(0)
	s_barrier
	buffer_gl0_inv
	s_and_saveexec_b32 s17, s7
	s_cbranch_execz .LBB30_15
; %bb.14:                               ;   in Loop: Header=BB30_3 Depth=1
	ds_load_b32 v64, v44
	s_waitcnt lgkmcnt(0)
	v_mov_b32_dpp v65, v64 row_shr:1 row_mask:0xf bank_mask:0xf
	s_delay_alu instid0(VALU_DEP_1) | instskip(NEXT) | instid1(VALU_DEP_1)
	v_cndmask_b32_e64 v65, v65, 0, s2
	v_add_nc_u32_e32 v64, v65, v64
	s_delay_alu instid0(VALU_DEP_1) | instskip(NEXT) | instid1(VALU_DEP_1)
	v_mov_b32_dpp v65, v64 row_shr:2 row_mask:0xf bank_mask:0xf
	v_cndmask_b32_e64 v65, 0, v65, s10
	s_delay_alu instid0(VALU_DEP_1)
	v_add_nc_u32_e32 v64, v64, v65
	ds_store_b32 v44, v64
.LBB30_15:                              ;   in Loop: Header=BB30_3 Depth=1
	s_or_b32 exec_lo, exec_lo, s17
	v_mov_b32_e32 v64, 0
	s_waitcnt lgkmcnt(0)
	s_barrier
	buffer_gl0_inv
	s_and_saveexec_b32 s17, s8
	s_cbranch_execz .LBB30_17
; %bb.16:                               ;   in Loop: Header=BB30_3 Depth=1
	ds_load_b32 v64, v42
.LBB30_17:                              ;   in Loop: Header=BB30_3 Depth=1
	s_or_b32 exec_lo, exec_lo, s17
	s_waitcnt lgkmcnt(0)
	v_add_nc_u32_e32 v8, v64, v8
	s_add_i32 s24, s24, 8
	s_delay_alu instid0(SALU_CYCLE_1) | instskip(SKIP_3) | instid1(VALU_DEP_1)
	s_cmp_ge_u32 s24, s25
	ds_bpermute_b32 v8, v41, v8
	s_waitcnt lgkmcnt(0)
	v_cndmask_b32_e64 v8, v8, v64, s6
	v_cndmask_b32_e64 v8, v8, 0, s9
	s_delay_alu instid0(VALU_DEP_1) | instskip(NEXT) | instid1(VALU_DEP_1)
	v_add_nc_u32_e32 v9, v8, v9
	v_add_nc_u32_e32 v10, v9, v10
	s_delay_alu instid0(VALU_DEP_1) | instskip(NEXT) | instid1(VALU_DEP_1)
	v_add_nc_u32_e32 v11, v10, v11
	v_add_nc_u32_e32 v64, v11, v12
	v_lshlrev_b32_e32 v12, 2, v59
	s_delay_alu instid0(VALU_DEP_2) | instskip(NEXT) | instid1(VALU_DEP_1)
	v_add_nc_u32_e32 v65, v64, v5
	v_add_nc_u32_e32 v5, v65, v6
	s_delay_alu instid0(VALU_DEP_1)
	v_add_nc_u32_e32 v6, v5, v7
	ds_store_2addr_b64 v22, v[8:9], v[10:11] offset0:2 offset1:3
	ds_store_2addr_b64 v38, v[64:65], v[5:6] offset0:2 offset1:3
	s_waitcnt lgkmcnt(0)
	s_barrier
	buffer_gl0_inv
	ds_load_b32 v5, v57
	ds_load_b32 v6, v60
	;; [unrolled: 1-line block ×4, first 2 shown]
	v_lshlrev_b32_e32 v9, 2, v53
	v_lshlrev_b32_e32 v10, 2, v56
	;; [unrolled: 1-line block ×6, first 2 shown]
	s_waitcnt lgkmcnt(0)
	v_lshlrev_b32_e32 v5, 2, v5
	v_lshlrev_b32_e32 v6, 2, v6
	;; [unrolled: 1-line block ×3, first 2 shown]
	v_lshl_add_u32 v53, v8, 2, v9
	s_delay_alu instid0(VALU_DEP_4) | instskip(NEXT) | instid1(VALU_DEP_4)
	v_add3_u32 v54, v10, v11, v5
	v_add3_u32 v55, v12, v55, v6
	s_delay_alu instid0(VALU_DEP_4)
	v_add3_u32 v56, v56, v57, v7
	s_cbranch_scc0 .LBB30_2
; %bb.18:
                                        ; implicit-def: $vgpr12
                                        ; implicit-def: $vgpr10
                                        ; implicit-def: $vgpr5
                                        ; implicit-def: $vgpr7
                                        ; implicit-def: $sgpr26
                                        ; implicit-def: $sgpr27
.LBB30_19:
	v_lshlrev_b32_e32 v14, 2, v21
	s_barrier
	buffer_gl0_inv
	ds_store_b32 v53, v45
	ds_store_b32 v54, v52
	;; [unrolled: 1-line block ×4, first 2 shown]
	s_waitcnt lgkmcnt(0)
	s_barrier
	buffer_gl0_inv
	ds_load_2addr_b64 v[5:8], v14 offset1:1
	s_mov_b32 s11, 0
	s_waitcnt lgkmcnt(0)
	s_barrier
	buffer_gl0_inv
	ds_store_b32 v53, v49
	ds_store_b32 v54, v48
	;; [unrolled: 1-line block ×4, first 2 shown]
	s_waitcnt lgkmcnt(0)
	s_barrier
	s_branch .LBB30_21
.LBB30_20:
                                        ; implicit-def: $vgpr8
                                        ; implicit-def: $vgpr14
.LBB30_21:
	v_add_co_u32 v11, s6, s20, v31
	s_delay_alu instid0(VALU_DEP_1) | instskip(SKIP_1) | instid1(VALU_DEP_1)
	v_add_co_ci_u32_e64 v12, null, s21, 0, s6
	v_add_co_u32 v9, s6, s22, v31
	v_add_co_ci_u32_e64 v10, null, s23, 0, s6
	s_and_b32 vcc_lo, exec_lo, s11
	s_cbranch_vccz .LBB30_69
; %bb.22:
	ds_bpermute_b32 v53, v30, v34
	ds_bpermute_b32 v46, v30, v35
	;; [unrolled: 1-line block ×4, first 2 shown]
	s_mov_b32 s6, 0
	ds_bpermute_b32 v48, v33, v35
	s_mov_b32 s7, s6
	ds_bpermute_b32 v40, v33, v37
	ds_bpermute_b32 v50, v30, v35 offset:64
	ds_bpermute_b32 v43, v30, v37 offset:64
	;; [unrolled: 1-line block ×4, first 2 shown]
	s_waitcnt vmcnt(0)
	ds_bpermute_b32 v57, v30, v1
	ds_bpermute_b32 v35, v33, v1
	ds_bpermute_b32 v37, v30, v1 offset:64
	ds_bpermute_b32 v41, v32, v1 offset:96
	s_waitcnt lgkmcnt(0)
	s_barrier
	buffer_gl0_inv
	s_load_b32 s1, s[0:1], 0x24
	v_and_b32_e32 v5, 0xffff0000, v53
	v_and_b32_e32 v6, 0xffff0000, v46
	;; [unrolled: 1-line block ×3, first 2 shown]
	ds_bpermute_b32 v54, v33, v34
	ds_bpermute_b32 v45, v33, v36
	v_cndmask_b32_e64 v5, 0, v5, s2
	ds_bpermute_b32 v55, v30, v34 offset:64
	ds_bpermute_b32 v47, v30, v36 offset:64
	;; [unrolled: 1-line block ×4, first 2 shown]
	v_cndmask_b32_e64 v5, v5, v6, s5
	v_and_b32_e32 v6, 0xffff0000, v14
	ds_bpermute_b32 v58, v30, v2
	ds_bpermute_b32 v16, v30, v3
	;; [unrolled: 1-line block ×3, first 2 shown]
	v_cndmask_b32_e64 v5, v5, v7, s4
	ds_bpermute_b32 v36, v33, v2
	ds_bpermute_b32 v31, v33, v3
	;; [unrolled: 1-line block ×3, first 2 shown]
	ds_bpermute_b32 v38, v30, v2 offset:64
	v_cndmask_b32_e64 v52, v5, v6, s3
	ds_bpermute_b32 v33, v30, v3 offset:64
	ds_bpermute_b32 v30, v30, v4 offset:64
	;; [unrolled: 1-line block ×4, first 2 shown]
	v_bfe_u32 v1, v52, 16, 1
	ds_bpermute_b32 v32, v32, v4 offset:96
	v_lshlrev_b32_e32 v2, 14, v52
	v_lshlrev_b32_e32 v3, 13, v52
	;; [unrolled: 1-line block ×3, first 2 shown]
	v_add_co_u32 v1, s0, v1, -1
	s_delay_alu instid0(VALU_DEP_1)
	v_cndmask_b32_e64 v4, 0, 1, s0
	v_not_b32_e32 v8, v2
	v_cmp_gt_i32_e64 s0, 0, v2
	v_not_b32_e32 v2, v3
	v_lshlrev_b32_e32 v6, 11, v52
	v_cmp_ne_u32_e32 vcc_lo, 0, v4
	v_ashrrev_i32_e32 v8, 31, v8
	v_lshlrev_b32_e32 v7, 10, v52
	v_ashrrev_i32_e32 v2, 31, v2
	v_lshlrev_b32_e32 v4, 9, v52
	v_xor_b32_e32 v1, vcc_lo, v1
	v_cmp_gt_i32_e32 vcc_lo, 0, v3
	v_not_b32_e32 v3, v5
	v_xor_b32_e32 v8, s0, v8
	v_cmp_gt_i32_e64 s0, 0, v5
	v_and_b32_e32 v1, exec_lo, v1
	v_not_b32_e32 v5, v6
	v_ashrrev_i32_e32 v3, 31, v3
	v_xor_b32_e32 v2, vcc_lo, v2
	v_cmp_gt_i32_e32 vcc_lo, 0, v6
	v_and_b32_e32 v1, v1, v8
	v_not_b32_e32 v6, v7
	v_ashrrev_i32_e32 v5, 31, v5
	v_xor_b32_e32 v3, s0, v3
	v_cmp_gt_i32_e64 s0, 0, v7
	v_and_b32_e32 v1, v1, v2
	v_not_b32_e32 v2, v4
	v_ashrrev_i32_e32 v6, 31, v6
	v_xor_b32_e32 v5, vcc_lo, v5
	v_cmp_gt_i32_e32 vcc_lo, 0, v4
	v_and_b32_e32 v1, v1, v3
	v_lshlrev_b32_e32 v3, 8, v52
	v_ashrrev_i32_e32 v2, 31, v2
	v_xor_b32_e32 v4, s0, v6
	s_waitcnt lgkmcnt(0)
	s_lshr_b32 s0, s1, 16
	v_and_b32_e32 v1, v1, v5
	v_not_b32_e32 v5, v3
	v_xor_b32_e32 v7, vcc_lo, v2
	v_cmp_gt_i32_e32 vcc_lo, 0, v3
	v_mad_u32_u24 v6, v29, s0, v28
	v_and_b32_e32 v1, v1, v4
	v_ashrrev_i32_e32 v4, 31, v5
	s_and_b32 s0, s1, 0xffff
	s_mov_b32 s1, s6
	v_mad_u64_u32 v[2:3], null, v6, s0, v[13:14]
	v_and_b32_e32 v1, v1, v7
	v_xor_b32_e32 v5, vcc_lo, v4
	v_lshrrev_b32_e32 v7, 14, v52
	s_mov_b32 s0, s6
	v_dual_mov_b32 v3, s6 :: v_dual_mov_b32 v4, s7
	s_delay_alu instid0(VALU_DEP_3) | instskip(SKIP_3) | instid1(VALU_DEP_4)
	v_and_b32_e32 v1, v1, v5
	v_lshrrev_b32_e32 v8, 5, v2
	v_and_b32_e32 v2, 0x3fc, v7
	v_dual_mov_b32 v6, s1 :: v_dual_mov_b32 v5, s0
	v_mbcnt_lo_u32_b32 v60, v1, 0
	v_cmp_ne_u32_e64 s0, 0, v1
	s_delay_alu instid0(VALU_DEP_4)
	v_add_lshl_u32 v29, v2, v8, 2
	ds_store_2addr_b64 v22, v[3:4], v[5:6] offset0:2 offset1:3
	ds_store_2addr_b64 v22, v[3:4], v[5:6] offset0:4 offset1:5
	v_cmp_eq_u32_e32 vcc_lo, 0, v60
	s_waitcnt lgkmcnt(0)
	s_barrier
	buffer_gl0_inv
	s_and_b32 s1, vcc_lo, s0
	; wave barrier
	s_delay_alu instid0(SALU_CYCLE_1)
	s_and_saveexec_b32 s0, s1
	s_cbranch_execz .LBB30_24
; %bb.23:
	v_bcnt_u32_b32 v1, v1, 0
	ds_store_b32 v29, v1 offset:16
.LBB30_24:
	s_or_b32 exec_lo, exec_lo, s0
	v_and_b32_e32 v1, 0xffff0000, v54
	v_and_b32_e32 v2, 0xffff0000, v48
	;; [unrolled: 1-line block ×3, first 2 shown]
	; wave barrier
	s_delay_alu instid0(VALU_DEP_3) | instskip(NEXT) | instid1(VALU_DEP_1)
	v_cndmask_b32_e64 v1, 0, v1, s2
	v_cndmask_b32_e64 v1, v1, v2, s5
	v_and_b32_e32 v2, 0xffff0000, v40
	s_delay_alu instid0(VALU_DEP_2) | instskip(NEXT) | instid1(VALU_DEP_1)
	v_cndmask_b32_e64 v1, v1, v3, s4
	v_cndmask_b32_e64 v59, v1, v2, s3
	s_delay_alu instid0(VALU_DEP_1)
	v_bfe_u32 v2, v59, 16, 1
	v_lshlrev_b32_e32 v3, 14, v59
	v_lshlrev_b32_e32 v4, 13, v59
	;; [unrolled: 1-line block ×4, first 2 shown]
	v_add_co_u32 v2, s0, v2, -1
	s_delay_alu instid0(VALU_DEP_1)
	v_cndmask_b32_e64 v6, 0, 1, s0
	v_not_b32_e32 v62, v3
	v_cmp_gt_i32_e64 s0, 0, v3
	v_not_b32_e32 v3, v4
	v_lshlrev_b32_e32 v28, 10, v59
	v_cmp_ne_u32_e32 vcc_lo, 0, v6
	v_ashrrev_i32_e32 v62, 31, v62
	v_lshlrev_b32_e32 v61, 9, v59
	v_ashrrev_i32_e32 v3, 31, v3
	v_lshlrev_b32_e32 v6, 8, v59
	v_xor_b32_e32 v2, vcc_lo, v2
	v_cmp_gt_i32_e32 vcc_lo, 0, v4
	v_not_b32_e32 v4, v5
	v_xor_b32_e32 v62, s0, v62
	v_cmp_gt_i32_e64 s0, 0, v5
	v_and_b32_e32 v2, exec_lo, v2
	v_not_b32_e32 v5, v7
	v_ashrrev_i32_e32 v4, 31, v4
	v_xor_b32_e32 v3, vcc_lo, v3
	v_cmp_gt_i32_e32 vcc_lo, 0, v7
	v_and_b32_e32 v2, v2, v62
	v_not_b32_e32 v7, v28
	v_ashrrev_i32_e32 v5, 31, v5
	v_xor_b32_e32 v4, s0, v4
	v_cmp_gt_i32_e64 s0, 0, v28
	v_and_b32_e32 v2, v2, v3
	v_not_b32_e32 v3, v61
	v_ashrrev_i32_e32 v7, 31, v7
	v_xor_b32_e32 v5, vcc_lo, v5
	v_lshrrev_b32_e32 v1, 14, v59
	v_and_b32_e32 v2, v2, v4
	v_cmp_gt_i32_e32 vcc_lo, 0, v61
	v_not_b32_e32 v4, v6
	v_ashrrev_i32_e32 v3, 31, v3
	v_xor_b32_e32 v7, s0, v7
	v_and_b32_e32 v2, v2, v5
	v_and_b32_e32 v1, 0x3fc, v1
	v_cmp_gt_i32_e64 s0, 0, v6
	v_ashrrev_i32_e32 v4, 31, v4
	v_xor_b32_e32 v3, vcc_lo, v3
	v_and_b32_e32 v2, v2, v7
	v_add_lshl_u32 v61, v1, v8, 2
	s_delay_alu instid0(VALU_DEP_4) | instskip(NEXT) | instid1(VALU_DEP_3)
	v_xor_b32_e32 v1, s0, v4
	v_and_b32_e32 v2, v2, v3
	ds_load_b32 v63, v61 offset:16
	; wave barrier
	v_and_b32_e32 v1, v2, v1
	s_delay_alu instid0(VALU_DEP_1) | instskip(SKIP_1) | instid1(VALU_DEP_2)
	v_mbcnt_lo_u32_b32 v64, v1, 0
	v_cmp_ne_u32_e64 s0, 0, v1
	v_cmp_eq_u32_e32 vcc_lo, 0, v64
	s_delay_alu instid0(VALU_DEP_2) | instskip(NEXT) | instid1(SALU_CYCLE_1)
	s_and_b32 s1, vcc_lo, s0
	s_and_saveexec_b32 s0, s1
	s_cbranch_execz .LBB30_26
; %bb.25:
	s_waitcnt lgkmcnt(0)
	v_bcnt_u32_b32 v1, v1, v63
	ds_store_b32 v61, v1 offset:16
.LBB30_26:
	s_or_b32 exec_lo, exec_lo, s0
	v_and_b32_e32 v1, 0xffff0000, v55
	v_and_b32_e32 v2, 0xffff0000, v50
	;; [unrolled: 1-line block ×3, first 2 shown]
	; wave barrier
	s_delay_alu instid0(VALU_DEP_3) | instskip(NEXT) | instid1(VALU_DEP_1)
	v_cndmask_b32_e64 v1, 0, v1, s2
	v_cndmask_b32_e64 v1, v1, v2, s5
	v_and_b32_e32 v2, 0xffff0000, v43
	s_delay_alu instid0(VALU_DEP_2) | instskip(NEXT) | instid1(VALU_DEP_1)
	v_cndmask_b32_e64 v1, v1, v3, s4
	v_cndmask_b32_e64 v62, v1, v2, s3
	s_delay_alu instid0(VALU_DEP_1)
	v_bfe_u32 v2, v62, 16, 1
	v_lshlrev_b32_e32 v3, 14, v62
	v_lshlrev_b32_e32 v4, 13, v62
	;; [unrolled: 1-line block ×4, first 2 shown]
	v_add_co_u32 v2, s0, v2, -1
	s_delay_alu instid0(VALU_DEP_1)
	v_cndmask_b32_e64 v6, 0, 1, s0
	v_not_b32_e32 v66, v3
	v_cmp_gt_i32_e64 s0, 0, v3
	v_not_b32_e32 v3, v4
	v_lshlrev_b32_e32 v28, 10, v62
	v_cmp_ne_u32_e32 vcc_lo, 0, v6
	v_ashrrev_i32_e32 v66, 31, v66
	v_lshlrev_b32_e32 v65, 9, v62
	v_ashrrev_i32_e32 v3, 31, v3
	v_lshlrev_b32_e32 v6, 8, v62
	v_xor_b32_e32 v2, vcc_lo, v2
	v_cmp_gt_i32_e32 vcc_lo, 0, v4
	v_not_b32_e32 v4, v5
	v_xor_b32_e32 v66, s0, v66
	v_cmp_gt_i32_e64 s0, 0, v5
	v_and_b32_e32 v2, exec_lo, v2
	v_not_b32_e32 v5, v7
	v_ashrrev_i32_e32 v4, 31, v4
	v_xor_b32_e32 v3, vcc_lo, v3
	v_cmp_gt_i32_e32 vcc_lo, 0, v7
	v_and_b32_e32 v2, v2, v66
	v_not_b32_e32 v7, v28
	v_ashrrev_i32_e32 v5, 31, v5
	v_xor_b32_e32 v4, s0, v4
	v_cmp_gt_i32_e64 s0, 0, v28
	v_and_b32_e32 v2, v2, v3
	v_not_b32_e32 v3, v65
	v_ashrrev_i32_e32 v7, 31, v7
	v_xor_b32_e32 v5, vcc_lo, v5
	v_lshrrev_b32_e32 v1, 14, v62
	v_and_b32_e32 v2, v2, v4
	v_cmp_gt_i32_e32 vcc_lo, 0, v65
	v_not_b32_e32 v4, v6
	v_ashrrev_i32_e32 v3, 31, v3
	v_xor_b32_e32 v7, s0, v7
	v_and_b32_e32 v2, v2, v5
	v_and_b32_e32 v1, 0x3fc, v1
	v_cmp_gt_i32_e64 s0, 0, v6
	v_ashrrev_i32_e32 v4, 31, v4
	v_xor_b32_e32 v3, vcc_lo, v3
	v_and_b32_e32 v2, v2, v7
	v_add_lshl_u32 v65, v1, v8, 2
	s_delay_alu instid0(VALU_DEP_4) | instskip(NEXT) | instid1(VALU_DEP_3)
	v_xor_b32_e32 v1, s0, v4
	v_and_b32_e32 v2, v2, v3
	ds_load_b32 v66, v65 offset:16
	; wave barrier
	v_and_b32_e32 v1, v2, v1
	s_delay_alu instid0(VALU_DEP_1) | instskip(SKIP_1) | instid1(VALU_DEP_2)
	v_mbcnt_lo_u32_b32 v68, v1, 0
	v_cmp_ne_u32_e64 s0, 0, v1
	v_cmp_eq_u32_e32 vcc_lo, 0, v68
	s_delay_alu instid0(VALU_DEP_2) | instskip(NEXT) | instid1(SALU_CYCLE_1)
	s_and_b32 s1, vcc_lo, s0
	s_and_saveexec_b32 s0, s1
	s_cbranch_execz .LBB30_28
; %bb.27:
	s_waitcnt lgkmcnt(0)
	v_bcnt_u32_b32 v1, v1, v66
	ds_store_b32 v65, v1 offset:16
.LBB30_28:
	s_or_b32 exec_lo, exec_lo, s0
	v_and_b32_e32 v1, 0xffff0000, v56
	v_and_b32_e32 v2, 0xffff0000, v51
	;; [unrolled: 1-line block ×3, first 2 shown]
	; wave barrier
	s_delay_alu instid0(VALU_DEP_3) | instskip(SKIP_1) | instid1(VALU_DEP_2)
	v_cndmask_b32_e64 v1, 0, v1, s2
	v_min_u32_e32 v72, 0x60, v0
	v_cndmask_b32_e64 v1, v1, v2, s5
	v_and_b32_e32 v2, 0xffff0000, v44
	s_delay_alu instid0(VALU_DEP_2) | instskip(NEXT) | instid1(VALU_DEP_1)
	v_cndmask_b32_e64 v1, v1, v3, s4
	v_cndmask_b32_e64 v67, v1, v2, s3
	s_delay_alu instid0(VALU_DEP_1)
	v_bfe_u32 v2, v67, 16, 1
	v_lshlrev_b32_e32 v3, 14, v67
	v_lshlrev_b32_e32 v4, 13, v67
	v_lshlrev_b32_e32 v5, 12, v67
	v_lshlrev_b32_e32 v7, 11, v67
	v_add_co_u32 v2, s0, v2, -1
	s_delay_alu instid0(VALU_DEP_1)
	v_cndmask_b32_e64 v6, 0, 1, s0
	v_not_b32_e32 v70, v3
	v_cmp_gt_i32_e64 s0, 0, v3
	v_not_b32_e32 v3, v4
	v_lshlrev_b32_e32 v28, 10, v67
	v_cmp_ne_u32_e32 vcc_lo, 0, v6
	v_ashrrev_i32_e32 v70, 31, v70
	v_lshlrev_b32_e32 v69, 9, v67
	v_ashrrev_i32_e32 v3, 31, v3
	v_lshlrev_b32_e32 v6, 8, v67
	v_xor_b32_e32 v2, vcc_lo, v2
	v_cmp_gt_i32_e32 vcc_lo, 0, v4
	v_not_b32_e32 v4, v5
	v_xor_b32_e32 v70, s0, v70
	v_cmp_gt_i32_e64 s0, 0, v5
	v_and_b32_e32 v2, exec_lo, v2
	v_not_b32_e32 v5, v7
	v_ashrrev_i32_e32 v4, 31, v4
	v_xor_b32_e32 v3, vcc_lo, v3
	v_cmp_gt_i32_e32 vcc_lo, 0, v7
	v_and_b32_e32 v2, v2, v70
	v_not_b32_e32 v7, v28
	v_ashrrev_i32_e32 v5, 31, v5
	v_xor_b32_e32 v4, s0, v4
	v_cmp_gt_i32_e64 s0, 0, v28
	v_and_b32_e32 v2, v2, v3
	v_not_b32_e32 v3, v69
	v_ashrrev_i32_e32 v7, 31, v7
	v_xor_b32_e32 v5, vcc_lo, v5
	v_lshrrev_b32_e32 v1, 14, v67
	v_and_b32_e32 v2, v2, v4
	v_cmp_gt_i32_e32 vcc_lo, 0, v69
	v_not_b32_e32 v4, v6
	v_ashrrev_i32_e32 v3, 31, v3
	v_xor_b32_e32 v7, s0, v7
	v_and_b32_e32 v2, v2, v5
	v_and_b32_e32 v1, 0x3fc, v1
	v_cmp_gt_i32_e64 s0, 0, v6
	v_ashrrev_i32_e32 v4, 31, v4
	v_xor_b32_e32 v3, vcc_lo, v3
	v_and_b32_e32 v2, v2, v7
	v_add_lshl_u32 v71, v1, v8, 2
	v_or_b32_e32 v28, 16, v22
	v_xor_b32_e32 v1, s0, v4
	s_delay_alu instid0(VALU_DEP_4) | instskip(SKIP_2) | instid1(VALU_DEP_1)
	v_and_b32_e32 v2, v2, v3
	ds_load_b32 v69, v71 offset:16
	; wave barrier
	v_and_b32_e32 v1, v2, v1
	v_mbcnt_lo_u32_b32 v70, v1, 0
	v_cmp_ne_u32_e64 s0, 0, v1
	s_delay_alu instid0(VALU_DEP_2) | instskip(NEXT) | instid1(VALU_DEP_2)
	v_cmp_eq_u32_e32 vcc_lo, 0, v70
	s_and_b32 s1, vcc_lo, s0
	s_delay_alu instid0(SALU_CYCLE_1)
	s_and_saveexec_b32 s0, s1
	s_cbranch_execz .LBB30_30
; %bb.29:
	s_waitcnt lgkmcnt(0)
	v_bcnt_u32_b32 v0, v1, v69
	ds_store_b32 v71, v0 offset:16
.LBB30_30:
	s_or_b32 exec_lo, exec_lo, s0
	; wave barrier
	s_waitcnt lgkmcnt(0)
	s_barrier
	buffer_gl0_inv
	ds_load_2addr_b64 v[4:7], v22 offset0:2 offset1:3
	ds_load_2addr_b64 v[0:3], v28 offset0:2 offset1:3
	v_cmp_eq_u32_e64 s0, 0, v26
	v_cmp_lt_u32_e64 s1, 1, v26
	v_cmp_lt_u32_e64 s6, 3, v26
	;; [unrolled: 1-line block ×3, first 2 shown]
	v_or_b32_e32 v72, 31, v72
	v_cmp_eq_u32_e64 s8, 0, v24
	v_and_b32_e32 v24, 0x7c, v27
	s_delay_alu instid0(VALU_DEP_3) | instskip(SKIP_2) | instid1(VALU_DEP_1)
	v_cmp_eq_u32_e64 s9, v72, v13
	s_waitcnt lgkmcnt(1)
	v_add_nc_u32_e32 v73, v5, v4
	v_add3_u32 v73, v73, v6, v7
	s_waitcnt lgkmcnt(0)
	s_delay_alu instid0(VALU_DEP_1) | instskip(NEXT) | instid1(VALU_DEP_1)
	v_add3_u32 v73, v73, v0, v1
	v_add3_u32 v3, v73, v2, v3
	s_delay_alu instid0(VALU_DEP_1) | instskip(NEXT) | instid1(VALU_DEP_1)
	v_mov_b32_dpp v73, v3 row_shr:1 row_mask:0xf bank_mask:0xf
	v_cndmask_b32_e64 v73, v73, 0, s0
	s_delay_alu instid0(VALU_DEP_1) | instskip(NEXT) | instid1(VALU_DEP_1)
	v_add_nc_u32_e32 v3, v73, v3
	v_mov_b32_dpp v73, v3 row_shr:2 row_mask:0xf bank_mask:0xf
	s_delay_alu instid0(VALU_DEP_1) | instskip(NEXT) | instid1(VALU_DEP_1)
	v_cndmask_b32_e64 v73, 0, v73, s1
	v_add_nc_u32_e32 v3, v3, v73
	s_delay_alu instid0(VALU_DEP_1) | instskip(NEXT) | instid1(VALU_DEP_1)
	v_mov_b32_dpp v73, v3 row_shr:4 row_mask:0xf bank_mask:0xf
	v_cndmask_b32_e64 v73, 0, v73, s6
	s_delay_alu instid0(VALU_DEP_1) | instskip(NEXT) | instid1(VALU_DEP_1)
	v_add_nc_u32_e32 v3, v3, v73
	v_mov_b32_dpp v73, v3 row_shr:8 row_mask:0xf bank_mask:0xf
	s_delay_alu instid0(VALU_DEP_1) | instskip(SKIP_1) | instid1(VALU_DEP_2)
	v_cndmask_b32_e64 v26, 0, v73, s7
	v_bfe_i32 v73, v18, 4, 1
	v_add_nc_u32_e32 v3, v3, v26
	ds_swizzle_b32 v26, v3 offset:swizzle(BROADCAST,32,15)
	s_waitcnt lgkmcnt(0)
	v_and_b32_e32 v26, v73, v26
	s_delay_alu instid0(VALU_DEP_1)
	v_add_nc_u32_e32 v3, v3, v26
	s_and_saveexec_b32 s10, s9
	s_cbranch_execz .LBB30_32
; %bb.31:
	ds_store_b32 v24, v3
.LBB30_32:
	s_or_b32 exec_lo, exec_lo, s10
	v_cmp_gt_u32_e64 s10, 4, v13
	v_cmp_lt_u32_e64 s11, 1, v23
	v_add_nc_u32_e32 v23, v22, v25
	s_waitcnt lgkmcnt(0)
	s_barrier
	buffer_gl0_inv
	s_and_saveexec_b32 s12, s10
	s_cbranch_execz .LBB30_34
; %bb.33:
	ds_load_b32 v25, v23
	s_waitcnt lgkmcnt(0)
	v_mov_b32_dpp v26, v25 row_shr:1 row_mask:0xf bank_mask:0xf
	s_delay_alu instid0(VALU_DEP_1) | instskip(NEXT) | instid1(VALU_DEP_1)
	v_cndmask_b32_e64 v26, v26, 0, s2
	v_add_nc_u32_e32 v25, v26, v25
	s_delay_alu instid0(VALU_DEP_1) | instskip(NEXT) | instid1(VALU_DEP_1)
	v_mov_b32_dpp v26, v25 row_shr:2 row_mask:0xf bank_mask:0xf
	v_cndmask_b32_e64 v26, 0, v26, s11
	s_delay_alu instid0(VALU_DEP_1)
	v_add_nc_u32_e32 v25, v25, v26
	ds_store_b32 v23, v25
.LBB30_34:
	s_or_b32 exec_lo, exec_lo, s12
	v_cmp_lt_u32_e64 s12, 31, v13
	v_add_nc_u32_e32 v25, -4, v24
	v_mov_b32_e32 v27, 0
	s_waitcnt lgkmcnt(0)
	s_barrier
	buffer_gl0_inv
	s_and_saveexec_b32 s13, s12
	s_cbranch_execz .LBB30_36
; %bb.35:
	ds_load_b32 v27, v25
.LBB30_36:
	s_or_b32 exec_lo, exec_lo, s13
	v_cmp_gt_i32_e32 vcc_lo, 0, v19
	s_mov_b32 s16, 0
	v_cmp_eq_u32_e64 s13, 0, v18
	s_mov_b32 s17, s16
	s_waitcnt lgkmcnt(0)
	v_add_nc_u32_e32 v3, v27, v3
	v_cndmask_b32_e32 v19, v19, v18, vcc_lo
	v_cmp_eq_u32_e64 s14, 0, v13
	s_mov_b32 s18, s16
	s_mov_b32 s19, s16
	v_cndmask_b32_e64 v13, 0, v54, s2
	v_lshlrev_b32_e32 v26, 2, v19
	v_cndmask_b32_e64 v54, 0, v56, s2
	v_lshlrev_b32_e32 v56, 2, v64
	ds_bpermute_b32 v3, v26, v3
	s_waitcnt lgkmcnt(0)
	v_cndmask_b32_e64 v3, v3, v27, s13
	v_lshlrev_b32_e32 v27, 2, v20
	v_lshlrev_b32_e32 v20, 2, v60
	s_delay_alu instid0(VALU_DEP_3) | instskip(NEXT) | instid1(VALU_DEP_1)
	v_cndmask_b32_e64 v3, v3, 0, s14
	v_add_nc_u32_e32 v4, v3, v4
	s_delay_alu instid0(VALU_DEP_1) | instskip(NEXT) | instid1(VALU_DEP_1)
	v_add_nc_u32_e32 v5, v4, v5
	v_add_nc_u32_e32 v6, v5, v6
	s_delay_alu instid0(VALU_DEP_1)
	v_add_nc_u32_e32 v18, v6, v7
	v_cndmask_b32_e64 v7, 0, v53, s2
	v_cndmask_b32_e64 v53, 0, v55, s2
	;; [unrolled: 1-line block ×3, first 2 shown]
	v_lshlrev_b32_e32 v57, 2, v63
	v_add_nc_u32_e32 v19, v18, v0
	v_cndmask_b32_e64 v7, v7, v46, s5
	v_lshlrev_b32_e32 v58, 2, v66
	s_delay_alu instid0(VALU_DEP_3) | instskip(NEXT) | instid1(VALU_DEP_3)
	v_add_nc_u32_e32 v0, v19, v1
	v_cndmask_b32_e64 v7, v7, v39, s4
	s_delay_alu instid0(VALU_DEP_2) | instskip(NEXT) | instid1(VALU_DEP_2)
	v_add_nc_u32_e32 v1, v0, v2
	v_cndmask_b32_e64 v7, v7, v14, s3
	v_lshlrev_b32_e32 v2, 2, v68
	v_lshlrev_b32_e32 v14, 2, v69
	ds_store_2addr_b64 v22, v[3:4], v[5:6] offset0:2 offset1:3
	ds_store_2addr_b64 v28, v[18:19], v[0:1] offset0:2 offset1:3
	s_waitcnt lgkmcnt(0)
	s_barrier
	buffer_gl0_inv
	ds_load_b32 v0, v71 offset:16
	ds_load_b32 v1, v65 offset:16
	;; [unrolled: 1-line block ×3, first 2 shown]
	v_cndmask_b32_e64 v4, v13, v48, s5
	ds_load_b32 v13, v29 offset:16
	v_cndmask_b32_e64 v5, v53, v50, s5
	v_cndmask_b32_e64 v6, v54, v51, s5
	v_lshlrev_b32_e32 v18, 2, v70
	v_cndmask_b32_e64 v4, v4, v45, s4
	v_and_or_b32 v7, 0xffff, v7, v52
	v_cndmask_b32_e64 v5, v5, v47, s4
	v_cndmask_b32_e64 v6, v6, v49, s4
	s_waitcnt lgkmcnt(0)
	v_cndmask_b32_e64 v4, v4, v40, s3
	s_barrier
	v_cndmask_b32_e64 v5, v5, v43, s3
	v_cndmask_b32_e64 v6, v6, v44, s3
	buffer_gl0_inv
	v_and_or_b32 v4, 0xffff, v4, v59
	v_lshlrev_b32_e32 v0, 2, v0
	v_lshlrev_b32_e32 v1, 2, v1
	;; [unrolled: 1-line block ×3, first 2 shown]
	v_and_or_b32 v5, 0xffff, v5, v62
	v_lshl_add_u32 v19, v13, 2, v20
	v_and_or_b32 v6, 0xffff, v6, v67
	v_add3_u32 v1, v2, v58, v1
	v_add3_u32 v3, v56, v57, v3
	;; [unrolled: 1-line block ×3, first 2 shown]
	ds_store_b32 v19, v7
	ds_store_b32 v3, v4
	;; [unrolled: 1-line block ×4, first 2 shown]
	s_waitcnt lgkmcnt(0)
	s_barrier
	buffer_gl0_inv
	ds_load_2addr_b32 v[13:14], v27 offset1:32
	v_cndmask_b32_e64 v2, v35, v36, s5
	v_cndmask_b32_e64 v6, v55, v16, s4
	;; [unrolled: 1-line block ×4, first 2 shown]
	s_delay_alu instid0(VALU_DEP_4) | instskip(NEXT) | instid1(VALU_DEP_4)
	v_cndmask_b32_e64 v2, v2, v31, s4
	v_cndmask_b32_e64 v6, v6, v15, s3
	s_delay_alu instid0(VALU_DEP_4) | instskip(NEXT) | instid1(VALU_DEP_4)
	v_cndmask_b32_e64 v4, v4, v33, s4
	v_cndmask_b32_e64 v5, v5, v34, s4
	ds_load_2addr_b32 v[15:16], v27 offset0:64 offset1:96
	v_cndmask_b32_e64 v2, v2, v17, s3
	s_waitcnt lgkmcnt(0)
	s_barrier
	buffer_gl0_inv
	ds_store_b32 v19, v6
	v_cndmask_b32_e64 v4, v4, v30, s3
	v_cndmask_b32_e64 v5, v5, v32, s3
	ds_store_b32 v3, v2
	v_bfe_u32 v6, v13, 24, 1
	v_lshrrev_b32_e32 v7, 24, v13
	v_and_b32_e32 v2, 0xff000000, v13
	ds_store_b32 v1, v4
	ds_store_b32 v0, v5
	v_add_co_u32 v3, s3, v6, -1
	s_delay_alu instid0(VALU_DEP_1)
	v_cndmask_b32_e64 v6, 0, 1, s3
	v_lshlrev_b32_e32 v17, 30, v7
	v_lshlrev_b32_e32 v18, 29, v7
	;; [unrolled: 1-line block ×4, first 2 shown]
	v_cmp_ne_u32_e32 vcc_lo, 0, v6
	v_not_b32_e32 v6, v17
	v_cmp_gt_i32_e64 s3, 0, v17
	v_not_b32_e32 v17, v18
	v_lshlrev_b32_e32 v29, 26, v7
	v_xor_b32_e32 v3, vcc_lo, v3
	v_ashrrev_i32_e32 v6, 31, v6
	v_cmp_gt_i32_e32 vcc_lo, 0, v18
	v_not_b32_e32 v18, v19
	v_ashrrev_i32_e32 v17, 31, v17
	v_and_b32_e32 v3, exec_lo, v3
	v_xor_b32_e32 v6, s3, v6
	v_cmp_gt_i32_e64 s3, 0, v19
	v_not_b32_e32 v19, v20
	v_ashrrev_i32_e32 v18, 31, v18
	v_xor_b32_e32 v17, vcc_lo, v17
	v_and_b32_e32 v3, v3, v6
	v_lshlrev_b32_e32 v30, 25, v7
	v_cmp_gt_i32_e32 vcc_lo, 0, v20
	v_not_b32_e32 v6, v29
	v_ashrrev_i32_e32 v19, 31, v19
	v_xor_b32_e32 v18, s3, v18
	v_and_b32_e32 v3, v3, v17
	v_cmp_gt_i32_e64 s3, 0, v29
	v_not_b32_e32 v17, v30
	v_ashrrev_i32_e32 v6, 31, v6
	v_xor_b32_e32 v19, vcc_lo, v19
	v_and_b32_e32 v3, v3, v18
	v_not_b32_e32 v18, v2
	v_cmp_gt_i32_e32 vcc_lo, 0, v30
	v_ashrrev_i32_e32 v17, 31, v17
	v_xor_b32_e32 v6, s3, v6
	v_and_b32_e32 v3, v3, v19
	v_cmp_gt_i32_e64 s3, 0, v2
	v_ashrrev_i32_e32 v1, 31, v18
	v_xor_b32_e32 v2, vcc_lo, v17
	s_waitcnt lgkmcnt(0)
	v_and_b32_e32 v3, v3, v6
	s_barrier
	v_xor_b32_e32 v0, s3, v1
	buffer_gl0_inv
	ds_load_2addr_b32 v[19:20], v27 offset1:32
	ds_load_2addr_b32 v[17:18], v27 offset0:64 offset1:96
	v_and_b32_e32 v3, v3, v2
	v_dual_mov_b32 v1, s16 :: v_dual_mov_b32 v2, s17
	s_waitcnt lgkmcnt(0)
	s_barrier
	s_delay_alu instid0(VALU_DEP_2)
	v_dual_mov_b32 v3, s18 :: v_dual_and_b32 v0, v3, v0
	v_mov_b32_e32 v4, s19
	buffer_gl0_inv
	ds_store_2addr_b64 v22, v[1:2], v[3:4] offset0:2 offset1:3
	ds_store_2addr_b64 v28, v[1:2], v[3:4] offset0:2 offset1:3
	v_mbcnt_lo_u32_b32 v29, v0, 0
	v_lshlrev_b32_e32 v1, 2, v7
	v_cmp_ne_u32_e64 s3, 0, v0
	s_waitcnt lgkmcnt(0)
	s_barrier
	v_cmp_eq_u32_e32 vcc_lo, 0, v29
	v_add_lshl_u32 v30, v1, v8, 2
	buffer_gl0_inv
	; wave barrier
	s_and_b32 s4, vcc_lo, s3
	s_delay_alu instid0(SALU_CYCLE_1)
	s_and_saveexec_b32 s3, s4
	s_cbranch_execz .LBB30_38
; %bb.37:
	v_bcnt_u32_b32 v0, v0, 0
	ds_store_b32 v30, v0 offset:16
.LBB30_38:
	s_or_b32 exec_lo, exec_lo, s3
	v_bfe_u32 v0, v14, 24, 1
	v_lshrrev_b32_e32 v1, 24, v14
	; wave barrier
	s_delay_alu instid0(VALU_DEP_2) | instskip(NEXT) | instid1(VALU_DEP_1)
	v_add_co_u32 v0, s3, v0, -1
	v_cndmask_b32_e64 v2, 0, 1, s3
	s_delay_alu instid0(VALU_DEP_3)
	v_lshlrev_b32_e32 v3, 30, v1
	v_lshlrev_b32_e32 v4, 29, v1
	;; [unrolled: 1-line block ×4, first 2 shown]
	v_cmp_ne_u32_e32 vcc_lo, 0, v2
	v_not_b32_e32 v2, v3
	v_cmp_gt_i32_e64 s3, 0, v3
	v_not_b32_e32 v3, v4
	v_lshlrev_b32_e32 v7, 26, v1
	v_xor_b32_e32 v0, vcc_lo, v0
	v_ashrrev_i32_e32 v2, 31, v2
	v_cmp_gt_i32_e32 vcc_lo, 0, v4
	v_not_b32_e32 v4, v5
	v_ashrrev_i32_e32 v3, 31, v3
	v_and_b32_e32 v0, exec_lo, v0
	v_xor_b32_e32 v2, s3, v2
	v_cmp_gt_i32_e64 s3, 0, v5
	v_not_b32_e32 v5, v6
	v_ashrrev_i32_e32 v4, 31, v4
	v_xor_b32_e32 v3, vcc_lo, v3
	v_and_b32_e32 v0, v0, v2
	v_lshlrev_b32_e32 v2, 25, v1
	v_cmp_gt_i32_e32 vcc_lo, 0, v6
	v_ashrrev_i32_e32 v5, 31, v5
	v_xor_b32_e32 v4, s3, v4
	v_and_b32_e32 v0, v0, v3
	v_not_b32_e32 v6, v7
	v_and_b32_e32 v3, 0xff000000, v14
	v_not_b32_e32 v31, v2
	v_xor_b32_e32 v5, vcc_lo, v5
	v_and_b32_e32 v0, v0, v4
	v_cmp_gt_i32_e32 vcc_lo, 0, v7
	v_ashrrev_i32_e32 v4, 31, v6
	v_cmp_gt_i32_e64 s3, 0, v2
	v_ashrrev_i32_e32 v2, 31, v31
	v_and_b32_e32 v0, v0, v5
	v_not_b32_e32 v5, v3
	v_xor_b32_e32 v4, vcc_lo, v4
	v_lshlrev_b32_e32 v1, 2, v1
	v_xor_b32_e32 v2, s3, v2
	v_cmp_gt_i32_e32 vcc_lo, 0, v3
	v_ashrrev_i32_e32 v3, 31, v5
	v_and_b32_e32 v0, v0, v4
	v_add_lshl_u32 v33, v1, v8, 2
	s_delay_alu instid0(VALU_DEP_3) | instskip(NEXT) | instid1(VALU_DEP_3)
	v_xor_b32_e32 v1, vcc_lo, v3
	v_and_b32_e32 v0, v0, v2
	ds_load_b32 v31, v33 offset:16
	; wave barrier
	v_and_b32_e32 v0, v0, v1
	s_delay_alu instid0(VALU_DEP_1) | instskip(SKIP_1) | instid1(VALU_DEP_2)
	v_mbcnt_lo_u32_b32 v32, v0, 0
	v_cmp_ne_u32_e64 s3, 0, v0
	v_cmp_eq_u32_e32 vcc_lo, 0, v32
	s_delay_alu instid0(VALU_DEP_2) | instskip(NEXT) | instid1(SALU_CYCLE_1)
	s_and_b32 s4, vcc_lo, s3
	s_and_saveexec_b32 s3, s4
	s_cbranch_execz .LBB30_40
; %bb.39:
	s_waitcnt lgkmcnt(0)
	v_bcnt_u32_b32 v0, v0, v31
	ds_store_b32 v33, v0 offset:16
.LBB30_40:
	s_or_b32 exec_lo, exec_lo, s3
	v_bfe_u32 v0, v15, 24, 1
	v_lshrrev_b32_e32 v1, 24, v15
	; wave barrier
	s_delay_alu instid0(VALU_DEP_2) | instskip(NEXT) | instid1(VALU_DEP_1)
	v_add_co_u32 v0, s3, v0, -1
	v_cndmask_b32_e64 v2, 0, 1, s3
	s_delay_alu instid0(VALU_DEP_3)
	v_lshlrev_b32_e32 v3, 30, v1
	v_lshlrev_b32_e32 v4, 29, v1
	;; [unrolled: 1-line block ×4, first 2 shown]
	v_cmp_ne_u32_e32 vcc_lo, 0, v2
	v_not_b32_e32 v2, v3
	v_cmp_gt_i32_e64 s3, 0, v3
	v_not_b32_e32 v3, v4
	v_lshlrev_b32_e32 v7, 26, v1
	v_xor_b32_e32 v0, vcc_lo, v0
	v_ashrrev_i32_e32 v2, 31, v2
	v_cmp_gt_i32_e32 vcc_lo, 0, v4
	v_not_b32_e32 v4, v5
	v_ashrrev_i32_e32 v3, 31, v3
	v_and_b32_e32 v0, exec_lo, v0
	v_xor_b32_e32 v2, s3, v2
	v_cmp_gt_i32_e64 s3, 0, v5
	v_not_b32_e32 v5, v6
	v_ashrrev_i32_e32 v4, 31, v4
	v_xor_b32_e32 v3, vcc_lo, v3
	v_and_b32_e32 v0, v0, v2
	v_lshlrev_b32_e32 v2, 25, v1
	v_cmp_gt_i32_e32 vcc_lo, 0, v6
	v_ashrrev_i32_e32 v5, 31, v5
	v_xor_b32_e32 v4, s3, v4
	v_and_b32_e32 v0, v0, v3
	v_not_b32_e32 v6, v7
	v_and_b32_e32 v3, 0xff000000, v15
	v_not_b32_e32 v34, v2
	v_xor_b32_e32 v5, vcc_lo, v5
	v_and_b32_e32 v0, v0, v4
	v_cmp_gt_i32_e32 vcc_lo, 0, v7
	v_ashrrev_i32_e32 v4, 31, v6
	v_cmp_gt_i32_e64 s3, 0, v2
	v_ashrrev_i32_e32 v2, 31, v34
	v_and_b32_e32 v0, v0, v5
	v_not_b32_e32 v5, v3
	v_xor_b32_e32 v4, vcc_lo, v4
	v_lshlrev_b32_e32 v1, 2, v1
	v_xor_b32_e32 v2, s3, v2
	v_cmp_gt_i32_e32 vcc_lo, 0, v3
	v_ashrrev_i32_e32 v3, 31, v5
	v_and_b32_e32 v0, v0, v4
	v_add_lshl_u32 v36, v1, v8, 2
	s_delay_alu instid0(VALU_DEP_3) | instskip(NEXT) | instid1(VALU_DEP_3)
	v_xor_b32_e32 v1, vcc_lo, v3
	v_and_b32_e32 v0, v0, v2
	ds_load_b32 v34, v36 offset:16
	; wave barrier
	v_and_b32_e32 v0, v0, v1
	s_delay_alu instid0(VALU_DEP_1) | instskip(SKIP_1) | instid1(VALU_DEP_2)
	v_mbcnt_lo_u32_b32 v35, v0, 0
	v_cmp_ne_u32_e64 s3, 0, v0
	v_cmp_eq_u32_e32 vcc_lo, 0, v35
	s_delay_alu instid0(VALU_DEP_2) | instskip(NEXT) | instid1(SALU_CYCLE_1)
	s_and_b32 s4, vcc_lo, s3
	s_and_saveexec_b32 s3, s4
	s_cbranch_execz .LBB30_42
; %bb.41:
	s_waitcnt lgkmcnt(0)
	v_bcnt_u32_b32 v0, v0, v34
	ds_store_b32 v36, v0 offset:16
.LBB30_42:
	s_or_b32 exec_lo, exec_lo, s3
	v_bfe_u32 v0, v16, 24, 1
	v_lshrrev_b32_e32 v1, 24, v16
	; wave barrier
	s_delay_alu instid0(VALU_DEP_2) | instskip(NEXT) | instid1(VALU_DEP_1)
	v_add_co_u32 v0, s3, v0, -1
	v_cndmask_b32_e64 v2, 0, 1, s3
	s_delay_alu instid0(VALU_DEP_3)
	v_lshlrev_b32_e32 v3, 30, v1
	v_lshlrev_b32_e32 v4, 29, v1
	;; [unrolled: 1-line block ×4, first 2 shown]
	v_cmp_ne_u32_e32 vcc_lo, 0, v2
	v_not_b32_e32 v2, v3
	v_cmp_gt_i32_e64 s3, 0, v3
	v_not_b32_e32 v3, v4
	v_lshlrev_b32_e32 v7, 26, v1
	v_xor_b32_e32 v0, vcc_lo, v0
	v_ashrrev_i32_e32 v2, 31, v2
	v_cmp_gt_i32_e32 vcc_lo, 0, v4
	v_not_b32_e32 v4, v5
	v_ashrrev_i32_e32 v3, 31, v3
	v_and_b32_e32 v0, exec_lo, v0
	v_xor_b32_e32 v2, s3, v2
	v_cmp_gt_i32_e64 s3, 0, v5
	v_not_b32_e32 v5, v6
	v_ashrrev_i32_e32 v4, 31, v4
	v_xor_b32_e32 v3, vcc_lo, v3
	v_and_b32_e32 v0, v0, v2
	v_lshlrev_b32_e32 v2, 25, v1
	v_cmp_gt_i32_e32 vcc_lo, 0, v6
	v_ashrrev_i32_e32 v5, 31, v5
	v_xor_b32_e32 v4, s3, v4
	v_and_b32_e32 v0, v0, v3
	v_not_b32_e32 v6, v7
	v_and_b32_e32 v3, 0xff000000, v16
	v_not_b32_e32 v37, v2
	v_xor_b32_e32 v5, vcc_lo, v5
	v_and_b32_e32 v0, v0, v4
	v_cmp_gt_i32_e32 vcc_lo, 0, v7
	v_ashrrev_i32_e32 v4, 31, v6
	v_cmp_gt_i32_e64 s3, 0, v2
	v_ashrrev_i32_e32 v2, 31, v37
	v_and_b32_e32 v0, v0, v5
	v_not_b32_e32 v5, v3
	v_xor_b32_e32 v4, vcc_lo, v4
	v_lshlrev_b32_e32 v1, 2, v1
	v_xor_b32_e32 v2, s3, v2
	v_cmp_gt_i32_e32 vcc_lo, 0, v3
	v_ashrrev_i32_e32 v3, 31, v5
	v_and_b32_e32 v0, v0, v4
	v_add_lshl_u32 v38, v1, v8, 2
	s_delay_alu instid0(VALU_DEP_3) | instskip(NEXT) | instid1(VALU_DEP_3)
	v_xor_b32_e32 v1, vcc_lo, v3
	v_and_b32_e32 v0, v0, v2
	ds_load_b32 v37, v38 offset:16
	; wave barrier
	v_and_b32_e32 v0, v0, v1
	s_delay_alu instid0(VALU_DEP_1) | instskip(SKIP_1) | instid1(VALU_DEP_2)
	v_mbcnt_lo_u32_b32 v39, v0, 0
	v_cmp_ne_u32_e64 s3, 0, v0
	v_cmp_eq_u32_e32 vcc_lo, 0, v39
	s_delay_alu instid0(VALU_DEP_2) | instskip(NEXT) | instid1(SALU_CYCLE_1)
	s_and_b32 s4, vcc_lo, s3
	s_and_saveexec_b32 s3, s4
	s_cbranch_execz .LBB30_44
; %bb.43:
	s_waitcnt lgkmcnt(0)
	v_bcnt_u32_b32 v0, v0, v37
	ds_store_b32 v38, v0 offset:16
.LBB30_44:
	s_or_b32 exec_lo, exec_lo, s3
	; wave barrier
	s_waitcnt lgkmcnt(0)
	s_barrier
	buffer_gl0_inv
	ds_load_2addr_b64 v[4:7], v22 offset0:2 offset1:3
	ds_load_2addr_b64 v[0:3], v28 offset0:2 offset1:3
	s_waitcnt lgkmcnt(1)
	v_add_nc_u32_e32 v40, v5, v4
	s_delay_alu instid0(VALU_DEP_1) | instskip(SKIP_1) | instid1(VALU_DEP_1)
	v_add3_u32 v40, v40, v6, v7
	s_waitcnt lgkmcnt(0)
	v_add3_u32 v40, v40, v0, v1
	s_delay_alu instid0(VALU_DEP_1) | instskip(NEXT) | instid1(VALU_DEP_1)
	v_add3_u32 v3, v40, v2, v3
	v_mov_b32_dpp v40, v3 row_shr:1 row_mask:0xf bank_mask:0xf
	s_delay_alu instid0(VALU_DEP_1) | instskip(NEXT) | instid1(VALU_DEP_1)
	v_cndmask_b32_e64 v40, v40, 0, s0
	v_add_nc_u32_e32 v3, v40, v3
	s_delay_alu instid0(VALU_DEP_1) | instskip(NEXT) | instid1(VALU_DEP_1)
	v_mov_b32_dpp v40, v3 row_shr:2 row_mask:0xf bank_mask:0xf
	v_cndmask_b32_e64 v40, 0, v40, s1
	s_delay_alu instid0(VALU_DEP_1) | instskip(NEXT) | instid1(VALU_DEP_1)
	v_add_nc_u32_e32 v3, v3, v40
	v_mov_b32_dpp v40, v3 row_shr:4 row_mask:0xf bank_mask:0xf
	s_delay_alu instid0(VALU_DEP_1) | instskip(NEXT) | instid1(VALU_DEP_1)
	v_cndmask_b32_e64 v40, 0, v40, s6
	v_add_nc_u32_e32 v3, v3, v40
	s_delay_alu instid0(VALU_DEP_1) | instskip(NEXT) | instid1(VALU_DEP_1)
	v_mov_b32_dpp v40, v3 row_shr:8 row_mask:0xf bank_mask:0xf
	v_cndmask_b32_e64 v40, 0, v40, s7
	s_delay_alu instid0(VALU_DEP_1) | instskip(SKIP_3) | instid1(VALU_DEP_1)
	v_add_nc_u32_e32 v3, v3, v40
	ds_swizzle_b32 v40, v3 offset:swizzle(BROADCAST,32,15)
	s_waitcnt lgkmcnt(0)
	v_cndmask_b32_e64 v40, v40, 0, s8
	v_add_nc_u32_e32 v43, v3, v40
	s_and_saveexec_b32 s3, s9
	s_cbranch_execz .LBB30_46
; %bb.45:
	ds_store_b32 v24, v43
.LBB30_46:
	s_or_b32 exec_lo, exec_lo, s3
	s_waitcnt lgkmcnt(0)
	s_barrier
	buffer_gl0_inv
	s_and_saveexec_b32 s3, s10
	s_cbranch_execz .LBB30_48
; %bb.47:
	ds_load_b32 v3, v23
	s_waitcnt lgkmcnt(0)
	v_mov_b32_dpp v40, v3 row_shr:1 row_mask:0xf bank_mask:0xf
	s_delay_alu instid0(VALU_DEP_1) | instskip(NEXT) | instid1(VALU_DEP_1)
	v_cndmask_b32_e64 v40, v40, 0, s2
	v_add_nc_u32_e32 v3, v40, v3
	s_delay_alu instid0(VALU_DEP_1) | instskip(NEXT) | instid1(VALU_DEP_1)
	v_mov_b32_dpp v40, v3 row_shr:2 row_mask:0xf bank_mask:0xf
	v_cndmask_b32_e64 v40, 0, v40, s11
	s_delay_alu instid0(VALU_DEP_1)
	v_add_nc_u32_e32 v3, v3, v40
	ds_store_b32 v23, v3
.LBB30_48:
	s_or_b32 exec_lo, exec_lo, s3
	v_lshrrev_b32_e32 v3, 16, v13
	v_lshrrev_b32_e32 v40, 16, v14
	;; [unrolled: 1-line block ×4, first 2 shown]
	v_mov_b32_e32 v44, 0
	s_waitcnt lgkmcnt(0)
	s_barrier
	buffer_gl0_inv
	s_and_saveexec_b32 s3, s12
	s_cbranch_execz .LBB30_50
; %bb.49:
	ds_load_b32 v44, v25
.LBB30_50:
	s_or_b32 exec_lo, exec_lo, s3
	s_mov_b32 s4, 0
	v_lshlrev_b32_e32 v29, 2, v29
	s_mov_b32 s5, s4
	s_waitcnt lgkmcnt(0)
	v_add_nc_u32_e32 v43, v44, v43
	s_mov_b32 s16, s4
	s_mov_b32 s17, s4
	v_lshlrev_b32_e32 v31, 2, v31
	v_perm_b32 v3, v13, v3, 0x1000504
	ds_bpermute_b32 v43, v26, v43
	v_lshlrev_b32_e32 v13, 2, v39
	s_waitcnt lgkmcnt(0)
	v_cndmask_b32_e64 v43, v43, v44, s13
	s_delay_alu instid0(VALU_DEP_1) | instskip(NEXT) | instid1(VALU_DEP_1)
	v_cndmask_b32_e64 v43, v43, 0, s14
	v_add_nc_u32_e32 v44, v43, v4
	s_delay_alu instid0(VALU_DEP_1) | instskip(NEXT) | instid1(VALU_DEP_1)
	v_add_nc_u32_e32 v4, v44, v5
	v_add_nc_u32_e32 v5, v4, v6
	s_delay_alu instid0(VALU_DEP_1) | instskip(NEXT) | instid1(VALU_DEP_1)
	v_add_nc_u32_e32 v6, v5, v7
	;; [unrolled: 3-line block ×3, first 2 shown]
	v_add_nc_u32_e32 v1, v0, v2
	ds_store_2addr_b64 v22, v[43:44], v[4:5] offset0:2 offset1:3
	ds_store_2addr_b64 v28, v[6:7], v[0:1] offset0:2 offset1:3
	s_waitcnt lgkmcnt(0)
	s_barrier
	buffer_gl0_inv
	ds_load_b32 v0, v33 offset:16
	ds_load_b32 v1, v36 offset:16
	;; [unrolled: 1-line block ×4, first 2 shown]
	v_lshlrev_b32_e32 v30, 2, v32
	v_perm_b32 v6, v15, v41, 0x1000504
	v_perm_b32 v7, v16, v42, 0x1000504
	v_lshlrev_b32_e32 v15, 2, v35
	v_lshlrev_b32_e32 v16, 2, v34
	v_perm_b32 v5, v14, v40, 0x1000504
	v_lshlrev_b32_e32 v14, 2, v37
	s_waitcnt lgkmcnt(0)
	s_barrier
	buffer_gl0_inv
	v_lshlrev_b32_e32 v0, 2, v0
	v_lshlrev_b32_e32 v1, 2, v1
	;; [unrolled: 1-line block ×3, first 2 shown]
	v_lshl_add_u32 v4, v4, 2, v29
	s_delay_alu instid0(VALU_DEP_4) | instskip(NEXT) | instid1(VALU_DEP_4)
	v_add3_u32 v29, v30, v31, v0
	v_add3_u32 v15, v15, v16, v1
	s_delay_alu instid0(VALU_DEP_4)
	v_add3_u32 v13, v13, v14, v2
	ds_store_b32 v4, v3
	ds_store_b32 v29, v5
	;; [unrolled: 1-line block ×4, first 2 shown]
	s_waitcnt lgkmcnt(0)
	s_barrier
	buffer_gl0_inv
	ds_load_2addr_b32 v[0:1], v27 offset1:32
	ds_load_2addr_b32 v[2:3], v27 offset0:64 offset1:96
	s_waitcnt lgkmcnt(0)
	s_barrier
	buffer_gl0_inv
	ds_store_b32 v4, v19
	ds_store_b32 v29, v20
	;; [unrolled: 1-line block ×4, first 2 shown]
	s_waitcnt lgkmcnt(0)
	s_barrier
	buffer_gl0_inv
	ds_load_2addr_b32 v[4:5], v27 offset1:32
	ds_load_2addr_b32 v[6:7], v27 offset0:64 offset1:96
	v_dual_mov_b32 v14, s5 :: v_dual_mov_b32 v15, s16
	v_dual_mov_b32 v16, s17 :: v_dual_mov_b32 v13, s4
	s_waitcnt lgkmcnt(0)
	s_barrier
	s_branch .LBB30_52
.LBB30_51:                              ;   in Loop: Header=BB30_52 Depth=1
	s_barrier
	buffer_gl0_inv
	ds_store_b32 v33, v17
	ds_store_b32 v34, v31
	;; [unrolled: 1-line block ×4, first 2 shown]
	s_waitcnt lgkmcnt(0)
	s_barrier
	buffer_gl0_inv
	ds_load_2addr_b32 v[0:1], v27 offset1:32
	ds_load_2addr_b32 v[2:3], v27 offset0:64 offset1:96
	s_waitcnt lgkmcnt(0)
	s_barrier
	buffer_gl0_inv
	ds_store_b32 v33, v29
	ds_store_b32 v34, v20
	;; [unrolled: 1-line block ×4, first 2 shown]
	s_waitcnt lgkmcnt(0)
	s_barrier
	buffer_gl0_inv
	ds_load_2addr_b32 v[4:5], v27 offset1:32
	ds_load_2addr_b32 v[6:7], v27 offset0:64 offset1:96
	s_add_i32 s4, s4, 8
	s_waitcnt lgkmcnt(0)
	s_barrier
	s_cbranch_execz .LBB30_68
.LBB30_52:                              ; =>This Inner Loop Header: Depth=1
	v_mov_b32_e32 v17, v0
	buffer_gl0_inv
	ds_store_2addr_b64 v22, v[13:14], v[15:16] offset0:2 offset1:3
	ds_store_2addr_b64 v28, v[13:14], v[15:16] offset0:2 offset1:3
	s_waitcnt lgkmcnt(0)
	s_barrier
	v_and_b32_e32 v0, 0xffff, v17
	buffer_gl0_inv
	; wave barrier
	v_bfe_u32 v18, v0, s4, 1
	v_lshrrev_b32_e32 v0, s4, v0
	s_delay_alu instid0(VALU_DEP_2) | instskip(NEXT) | instid1(VALU_DEP_1)
	v_add_co_u32 v18, s3, v18, -1
	v_cndmask_b32_e64 v19, 0, 1, s3
	s_delay_alu instid0(VALU_DEP_3)
	v_lshlrev_b32_e32 v20, 30, v0
	v_lshlrev_b32_e32 v29, 29, v0
	;; [unrolled: 1-line block ×4, first 2 shown]
	v_cmp_ne_u32_e32 vcc_lo, 0, v19
	v_not_b32_e32 v19, v20
	v_cmp_gt_i32_e64 s3, 0, v20
	v_not_b32_e32 v20, v29
	v_lshlrev_b32_e32 v32, 26, v0
	v_xor_b32_e32 v18, vcc_lo, v18
	v_ashrrev_i32_e32 v19, 31, v19
	v_cmp_gt_i32_e32 vcc_lo, 0, v29
	v_not_b32_e32 v29, v30
	v_ashrrev_i32_e32 v20, 31, v20
	v_and_b32_e32 v18, exec_lo, v18
	v_xor_b32_e32 v19, s3, v19
	v_cmp_gt_i32_e64 s3, 0, v30
	v_not_b32_e32 v30, v31
	v_ashrrev_i32_e32 v29, 31, v29
	v_xor_b32_e32 v20, vcc_lo, v20
	v_and_b32_e32 v18, v18, v19
	v_lshlrev_b32_e32 v33, 25, v0
	v_cmp_gt_i32_e32 vcc_lo, 0, v31
	v_ashrrev_i32_e32 v30, 31, v30
	v_xor_b32_e32 v29, s3, v29
	v_dual_mov_b32 v31, v1 :: v_dual_and_b32 v18, v18, v20
	v_not_b32_e32 v19, v32
	v_lshlrev_b32_e32 v34, 24, v0
	v_cmp_gt_i32_e64 s3, 0, v32
	v_mov_b32_e32 v32, v2
	v_not_b32_e32 v20, v33
	v_ashrrev_i32_e32 v19, 31, v19
	v_xor_b32_e32 v30, vcc_lo, v30
	v_and_b32_e32 v18, v18, v29
	v_cmp_gt_i32_e32 vcc_lo, 0, v33
	v_not_b32_e32 v29, v34
	v_ashrrev_i32_e32 v20, 31, v20
	v_xor_b32_e32 v19, s3, v19
	v_and_b32_e32 v18, v18, v30
	v_cmp_gt_i32_e64 s3, 0, v34
	v_ashrrev_i32_e32 v29, 31, v29
	v_xor_b32_e32 v20, vcc_lo, v20
	s_delay_alu instid0(VALU_DEP_4) | instskip(SKIP_1) | instid1(VALU_DEP_4)
	v_and_b32_e32 v30, v18, v19
	v_dual_mov_b32 v18, v7 :: v_dual_mov_b32 v19, v6
	v_xor_b32_e32 v6, s3, v29
	v_mov_b32_e32 v29, v4
	s_delay_alu instid0(VALU_DEP_4) | instskip(SKIP_2) | instid1(VALU_DEP_3)
	v_dual_mov_b32 v30, v3 :: v_dual_and_b32 v7, v30, v20
	v_lshlrev_b32_e32 v4, 2, v0
	v_mov_b32_e32 v20, v5
	v_and_b32_e32 v0, v7, v6
	s_delay_alu instid0(VALU_DEP_3) | instskip(NEXT) | instid1(VALU_DEP_2)
	v_and_b32_e32 v1, 0x3fc, v4
	v_mbcnt_lo_u32_b32 v33, v0, 0
	v_cmp_ne_u32_e64 s3, 0, v0
	s_delay_alu instid0(VALU_DEP_3) | instskip(NEXT) | instid1(VALU_DEP_3)
	v_add_nc_u32_e32 v1, v1, v8
	v_cmp_eq_u32_e32 vcc_lo, 0, v33
	s_delay_alu instid0(VALU_DEP_2) | instskip(NEXT) | instid1(VALU_DEP_4)
	v_lshl_add_u32 v34, v1, 2, 16
	s_and_b32 s5, vcc_lo, s3
	s_delay_alu instid0(SALU_CYCLE_1)
	s_and_saveexec_b32 s3, s5
	s_cbranch_execz .LBB30_54
; %bb.53:                               ;   in Loop: Header=BB30_52 Depth=1
	v_bcnt_u32_b32 v0, v0, 0
	ds_store_b32 v34, v0
.LBB30_54:                              ;   in Loop: Header=BB30_52 Depth=1
	s_or_b32 exec_lo, exec_lo, s3
	v_and_b32_e32 v0, 0xffff, v31
	; wave barrier
	s_delay_alu instid0(VALU_DEP_1) | instskip(SKIP_1) | instid1(VALU_DEP_2)
	v_lshrrev_b32_e32 v1, s4, v0
	v_bfe_u32 v0, v0, s4, 1
	v_lshlrev_b32_e32 v4, 30, v1
	s_delay_alu instid0(VALU_DEP_2) | instskip(NEXT) | instid1(VALU_DEP_1)
	v_add_co_u32 v0, s3, v0, -1
	v_cndmask_b32_e64 v3, 0, 1, s3
	v_lshlrev_b32_e32 v5, 29, v1
	v_lshlrev_b32_e32 v6, 28, v1
	v_cmp_gt_i32_e64 s3, 0, v4
	v_lshlrev_b32_e32 v7, 27, v1
	v_cmp_ne_u32_e32 vcc_lo, 0, v3
	v_not_b32_e32 v3, v4
	v_not_b32_e32 v4, v5
	v_lshlrev_b32_e32 v35, 26, v1
	v_lshlrev_b32_e32 v36, 25, v1
	v_xor_b32_e32 v0, vcc_lo, v0
	v_ashrrev_i32_e32 v3, 31, v3
	v_cmp_gt_i32_e32 vcc_lo, 0, v5
	v_not_b32_e32 v5, v6
	v_ashrrev_i32_e32 v4, 31, v4
	v_and_b32_e32 v0, exec_lo, v0
	v_xor_b32_e32 v3, s3, v3
	v_cmp_gt_i32_e64 s3, 0, v6
	v_not_b32_e32 v6, v7
	v_ashrrev_i32_e32 v5, 31, v5
	v_xor_b32_e32 v4, vcc_lo, v4
	v_and_b32_e32 v0, v0, v3
	v_cmp_gt_i32_e32 vcc_lo, 0, v7
	v_not_b32_e32 v3, v35
	v_ashrrev_i32_e32 v6, 31, v6
	v_xor_b32_e32 v5, s3, v5
	v_and_b32_e32 v0, v0, v4
	v_lshlrev_b32_e32 v2, 2, v1
	v_lshlrev_b32_e32 v1, 24, v1
	v_cmp_gt_i32_e64 s3, 0, v35
	v_not_b32_e32 v4, v36
	v_ashrrev_i32_e32 v3, 31, v3
	v_xor_b32_e32 v6, vcc_lo, v6
	v_and_b32_e32 v0, v0, v5
	v_cmp_gt_i32_e32 vcc_lo, 0, v36
	v_not_b32_e32 v5, v1
	v_ashrrev_i32_e32 v4, 31, v4
	v_xor_b32_e32 v3, s3, v3
	v_and_b32_e32 v0, v0, v6
	v_and_b32_e32 v2, 0x3fc, v2
	v_cmp_gt_i32_e64 s3, 0, v1
	v_ashrrev_i32_e32 v1, 31, v5
	v_xor_b32_e32 v4, vcc_lo, v4
	v_and_b32_e32 v0, v0, v3
	v_add_lshl_u32 v2, v2, v8, 2
	s_delay_alu instid0(VALU_DEP_4) | instskip(NEXT) | instid1(VALU_DEP_3)
	v_xor_b32_e32 v1, s3, v1
	v_and_b32_e32 v0, v0, v4
	ds_load_b32 v35, v2 offset:16
	v_add_nc_u32_e32 v37, 16, v2
	; wave barrier
	v_and_b32_e32 v0, v0, v1
	s_delay_alu instid0(VALU_DEP_1) | instskip(SKIP_1) | instid1(VALU_DEP_2)
	v_mbcnt_lo_u32_b32 v36, v0, 0
	v_cmp_ne_u32_e64 s3, 0, v0
	v_cmp_eq_u32_e32 vcc_lo, 0, v36
	s_delay_alu instid0(VALU_DEP_2) | instskip(NEXT) | instid1(SALU_CYCLE_1)
	s_and_b32 s5, vcc_lo, s3
	s_and_saveexec_b32 s3, s5
	s_cbranch_execz .LBB30_56
; %bb.55:                               ;   in Loop: Header=BB30_52 Depth=1
	s_waitcnt lgkmcnt(0)
	v_bcnt_u32_b32 v0, v0, v35
	ds_store_b32 v37, v0
.LBB30_56:                              ;   in Loop: Header=BB30_52 Depth=1
	s_or_b32 exec_lo, exec_lo, s3
	v_and_b32_e32 v0, 0xffff, v32
	; wave barrier
	s_delay_alu instid0(VALU_DEP_1) | instskip(SKIP_1) | instid1(VALU_DEP_2)
	v_lshrrev_b32_e32 v1, s4, v0
	v_bfe_u32 v0, v0, s4, 1
	v_lshlrev_b32_e32 v4, 30, v1
	s_delay_alu instid0(VALU_DEP_2) | instskip(NEXT) | instid1(VALU_DEP_1)
	v_add_co_u32 v0, s3, v0, -1
	v_cndmask_b32_e64 v3, 0, 1, s3
	v_lshlrev_b32_e32 v5, 29, v1
	v_lshlrev_b32_e32 v6, 28, v1
	v_cmp_gt_i32_e64 s3, 0, v4
	v_lshlrev_b32_e32 v7, 27, v1
	v_cmp_ne_u32_e32 vcc_lo, 0, v3
	v_not_b32_e32 v3, v4
	v_not_b32_e32 v4, v5
	v_lshlrev_b32_e32 v38, 26, v1
	v_lshlrev_b32_e32 v39, 25, v1
	v_xor_b32_e32 v0, vcc_lo, v0
	v_ashrrev_i32_e32 v3, 31, v3
	v_cmp_gt_i32_e32 vcc_lo, 0, v5
	v_not_b32_e32 v5, v6
	v_ashrrev_i32_e32 v4, 31, v4
	v_and_b32_e32 v0, exec_lo, v0
	v_xor_b32_e32 v3, s3, v3
	v_cmp_gt_i32_e64 s3, 0, v6
	v_not_b32_e32 v6, v7
	v_ashrrev_i32_e32 v5, 31, v5
	v_xor_b32_e32 v4, vcc_lo, v4
	v_and_b32_e32 v0, v0, v3
	v_cmp_gt_i32_e32 vcc_lo, 0, v7
	v_not_b32_e32 v3, v38
	v_ashrrev_i32_e32 v6, 31, v6
	v_xor_b32_e32 v5, s3, v5
	v_and_b32_e32 v0, v0, v4
	v_lshlrev_b32_e32 v2, 2, v1
	v_lshlrev_b32_e32 v1, 24, v1
	v_cmp_gt_i32_e64 s3, 0, v38
	v_not_b32_e32 v4, v39
	v_ashrrev_i32_e32 v3, 31, v3
	v_xor_b32_e32 v6, vcc_lo, v6
	v_and_b32_e32 v0, v0, v5
	v_cmp_gt_i32_e32 vcc_lo, 0, v39
	v_not_b32_e32 v5, v1
	v_ashrrev_i32_e32 v4, 31, v4
	v_xor_b32_e32 v3, s3, v3
	v_and_b32_e32 v0, v0, v6
	v_and_b32_e32 v2, 0x3fc, v2
	v_cmp_gt_i32_e64 s3, 0, v1
	v_ashrrev_i32_e32 v1, 31, v5
	v_xor_b32_e32 v4, vcc_lo, v4
	v_and_b32_e32 v0, v0, v3
	v_add_lshl_u32 v2, v2, v8, 2
	s_delay_alu instid0(VALU_DEP_4) | instskip(NEXT) | instid1(VALU_DEP_3)
	v_xor_b32_e32 v1, s3, v1
	v_and_b32_e32 v0, v0, v4
	ds_load_b32 v38, v2 offset:16
	v_add_nc_u32_e32 v40, 16, v2
	; wave barrier
	v_and_b32_e32 v0, v0, v1
	s_delay_alu instid0(VALU_DEP_1) | instskip(SKIP_1) | instid1(VALU_DEP_2)
	v_mbcnt_lo_u32_b32 v39, v0, 0
	v_cmp_ne_u32_e64 s3, 0, v0
	v_cmp_eq_u32_e32 vcc_lo, 0, v39
	s_delay_alu instid0(VALU_DEP_2) | instskip(NEXT) | instid1(SALU_CYCLE_1)
	s_and_b32 s5, vcc_lo, s3
	s_and_saveexec_b32 s3, s5
	s_cbranch_execz .LBB30_58
; %bb.57:                               ;   in Loop: Header=BB30_52 Depth=1
	s_waitcnt lgkmcnt(0)
	v_bcnt_u32_b32 v0, v0, v38
	ds_store_b32 v40, v0
.LBB30_58:                              ;   in Loop: Header=BB30_52 Depth=1
	s_or_b32 exec_lo, exec_lo, s3
	v_and_b32_e32 v0, 0xffff, v30
	; wave barrier
	s_delay_alu instid0(VALU_DEP_1) | instskip(SKIP_1) | instid1(VALU_DEP_2)
	v_lshrrev_b32_e32 v1, s4, v0
	v_bfe_u32 v0, v0, s4, 1
	v_lshlrev_b32_e32 v4, 30, v1
	s_delay_alu instid0(VALU_DEP_2) | instskip(NEXT) | instid1(VALU_DEP_1)
	v_add_co_u32 v0, s3, v0, -1
	v_cndmask_b32_e64 v3, 0, 1, s3
	v_lshlrev_b32_e32 v5, 29, v1
	v_lshlrev_b32_e32 v6, 28, v1
	v_cmp_gt_i32_e64 s3, 0, v4
	v_lshlrev_b32_e32 v7, 27, v1
	v_cmp_ne_u32_e32 vcc_lo, 0, v3
	v_not_b32_e32 v3, v4
	v_not_b32_e32 v4, v5
	v_lshlrev_b32_e32 v41, 26, v1
	v_lshlrev_b32_e32 v42, 25, v1
	v_xor_b32_e32 v0, vcc_lo, v0
	v_ashrrev_i32_e32 v3, 31, v3
	v_cmp_gt_i32_e32 vcc_lo, 0, v5
	v_not_b32_e32 v5, v6
	v_ashrrev_i32_e32 v4, 31, v4
	v_and_b32_e32 v0, exec_lo, v0
	v_xor_b32_e32 v3, s3, v3
	v_cmp_gt_i32_e64 s3, 0, v6
	v_not_b32_e32 v6, v7
	v_ashrrev_i32_e32 v5, 31, v5
	v_xor_b32_e32 v4, vcc_lo, v4
	v_and_b32_e32 v0, v0, v3
	v_cmp_gt_i32_e32 vcc_lo, 0, v7
	v_not_b32_e32 v3, v41
	v_ashrrev_i32_e32 v6, 31, v6
	v_xor_b32_e32 v5, s3, v5
	v_and_b32_e32 v0, v0, v4
	v_lshlrev_b32_e32 v2, 2, v1
	v_lshlrev_b32_e32 v1, 24, v1
	v_cmp_gt_i32_e64 s3, 0, v41
	v_not_b32_e32 v4, v42
	v_ashrrev_i32_e32 v3, 31, v3
	v_xor_b32_e32 v6, vcc_lo, v6
	v_and_b32_e32 v0, v0, v5
	v_cmp_gt_i32_e32 vcc_lo, 0, v42
	v_not_b32_e32 v5, v1
	v_ashrrev_i32_e32 v4, 31, v4
	v_xor_b32_e32 v3, s3, v3
	v_and_b32_e32 v0, v0, v6
	v_and_b32_e32 v2, 0x3fc, v2
	v_cmp_gt_i32_e64 s3, 0, v1
	v_ashrrev_i32_e32 v1, 31, v5
	v_xor_b32_e32 v4, vcc_lo, v4
	v_and_b32_e32 v0, v0, v3
	v_add_lshl_u32 v2, v2, v8, 2
	s_delay_alu instid0(VALU_DEP_4) | instskip(NEXT) | instid1(VALU_DEP_3)
	v_xor_b32_e32 v1, s3, v1
	v_and_b32_e32 v0, v0, v4
	ds_load_b32 v41, v2 offset:16
	v_add_nc_u32_e32 v43, 16, v2
	; wave barrier
	v_and_b32_e32 v0, v0, v1
	s_delay_alu instid0(VALU_DEP_1) | instskip(SKIP_1) | instid1(VALU_DEP_2)
	v_mbcnt_lo_u32_b32 v42, v0, 0
	v_cmp_ne_u32_e64 s3, 0, v0
	v_cmp_eq_u32_e32 vcc_lo, 0, v42
	s_delay_alu instid0(VALU_DEP_2) | instskip(NEXT) | instid1(SALU_CYCLE_1)
	s_and_b32 s5, vcc_lo, s3
	s_and_saveexec_b32 s3, s5
	s_cbranch_execz .LBB30_60
; %bb.59:                               ;   in Loop: Header=BB30_52 Depth=1
	s_waitcnt lgkmcnt(0)
	v_bcnt_u32_b32 v0, v0, v41
	ds_store_b32 v43, v0
.LBB30_60:                              ;   in Loop: Header=BB30_52 Depth=1
	s_or_b32 exec_lo, exec_lo, s3
	; wave barrier
	s_waitcnt lgkmcnt(0)
	s_barrier
	buffer_gl0_inv
	ds_load_2addr_b64 v[4:7], v22 offset0:2 offset1:3
	ds_load_2addr_b64 v[0:3], v28 offset0:2 offset1:3
	s_waitcnt lgkmcnt(1)
	v_add_nc_u32_e32 v44, v5, v4
	s_delay_alu instid0(VALU_DEP_1) | instskip(SKIP_1) | instid1(VALU_DEP_1)
	v_add3_u32 v44, v44, v6, v7
	s_waitcnt lgkmcnt(0)
	v_add3_u32 v44, v44, v0, v1
	s_delay_alu instid0(VALU_DEP_1) | instskip(NEXT) | instid1(VALU_DEP_1)
	v_add3_u32 v3, v44, v2, v3
	v_mov_b32_dpp v44, v3 row_shr:1 row_mask:0xf bank_mask:0xf
	s_delay_alu instid0(VALU_DEP_1) | instskip(NEXT) | instid1(VALU_DEP_1)
	v_cndmask_b32_e64 v44, v44, 0, s0
	v_add_nc_u32_e32 v3, v44, v3
	s_delay_alu instid0(VALU_DEP_1) | instskip(NEXT) | instid1(VALU_DEP_1)
	v_mov_b32_dpp v44, v3 row_shr:2 row_mask:0xf bank_mask:0xf
	v_cndmask_b32_e64 v44, 0, v44, s1
	s_delay_alu instid0(VALU_DEP_1) | instskip(NEXT) | instid1(VALU_DEP_1)
	v_add_nc_u32_e32 v3, v3, v44
	v_mov_b32_dpp v44, v3 row_shr:4 row_mask:0xf bank_mask:0xf
	s_delay_alu instid0(VALU_DEP_1) | instskip(NEXT) | instid1(VALU_DEP_1)
	v_cndmask_b32_e64 v44, 0, v44, s6
	v_add_nc_u32_e32 v3, v3, v44
	s_delay_alu instid0(VALU_DEP_1) | instskip(NEXT) | instid1(VALU_DEP_1)
	v_mov_b32_dpp v44, v3 row_shr:8 row_mask:0xf bank_mask:0xf
	v_cndmask_b32_e64 v44, 0, v44, s7
	s_delay_alu instid0(VALU_DEP_1) | instskip(SKIP_3) | instid1(VALU_DEP_1)
	v_add_nc_u32_e32 v3, v3, v44
	ds_swizzle_b32 v44, v3 offset:swizzle(BROADCAST,32,15)
	s_waitcnt lgkmcnt(0)
	v_cndmask_b32_e64 v44, v44, 0, s8
	v_add_nc_u32_e32 v3, v3, v44
	s_and_saveexec_b32 s3, s9
	s_cbranch_execz .LBB30_62
; %bb.61:                               ;   in Loop: Header=BB30_52 Depth=1
	ds_store_b32 v24, v3
.LBB30_62:                              ;   in Loop: Header=BB30_52 Depth=1
	s_or_b32 exec_lo, exec_lo, s3
	s_waitcnt lgkmcnt(0)
	s_barrier
	buffer_gl0_inv
	s_and_saveexec_b32 s3, s10
	s_cbranch_execz .LBB30_64
; %bb.63:                               ;   in Loop: Header=BB30_52 Depth=1
	ds_load_b32 v44, v23
	s_waitcnt lgkmcnt(0)
	v_mov_b32_dpp v45, v44 row_shr:1 row_mask:0xf bank_mask:0xf
	s_delay_alu instid0(VALU_DEP_1) | instskip(NEXT) | instid1(VALU_DEP_1)
	v_cndmask_b32_e64 v45, v45, 0, s2
	v_add_nc_u32_e32 v44, v45, v44
	s_delay_alu instid0(VALU_DEP_1) | instskip(NEXT) | instid1(VALU_DEP_1)
	v_mov_b32_dpp v45, v44 row_shr:2 row_mask:0xf bank_mask:0xf
	v_cndmask_b32_e64 v45, 0, v45, s11
	s_delay_alu instid0(VALU_DEP_1)
	v_add_nc_u32_e32 v44, v44, v45
	ds_store_b32 v23, v44
.LBB30_64:                              ;   in Loop: Header=BB30_52 Depth=1
	s_or_b32 exec_lo, exec_lo, s3
	v_mov_b32_e32 v44, 0
	s_waitcnt lgkmcnt(0)
	s_barrier
	buffer_gl0_inv
	s_and_saveexec_b32 s3, s12
	s_cbranch_execz .LBB30_66
; %bb.65:                               ;   in Loop: Header=BB30_52 Depth=1
	ds_load_b32 v44, v25
.LBB30_66:                              ;   in Loop: Header=BB30_52 Depth=1
	s_or_b32 exec_lo, exec_lo, s3
	s_waitcnt lgkmcnt(0)
	v_add_nc_u32_e32 v3, v44, v3
	s_add_i32 s3, s4, 16
	s_delay_alu instid0(SALU_CYCLE_1) | instskip(SKIP_3) | instid1(VALU_DEP_1)
	s_cmp_gt_u32 s3, 23
	ds_bpermute_b32 v3, v26, v3
	s_waitcnt lgkmcnt(0)
	v_cndmask_b32_e64 v3, v3, v44, s13
	v_cndmask_b32_e64 v3, v3, 0, s14
	s_delay_alu instid0(VALU_DEP_1) | instskip(NEXT) | instid1(VALU_DEP_1)
	v_add_nc_u32_e32 v4, v3, v4
	v_add_nc_u32_e32 v5, v4, v5
	s_delay_alu instid0(VALU_DEP_1) | instskip(NEXT) | instid1(VALU_DEP_1)
	v_add_nc_u32_e32 v6, v5, v6
	v_add_nc_u32_e32 v44, v6, v7
	v_lshlrev_b32_e32 v7, 2, v39
	s_delay_alu instid0(VALU_DEP_2) | instskip(NEXT) | instid1(VALU_DEP_1)
	v_add_nc_u32_e32 v45, v44, v0
	v_add_nc_u32_e32 v0, v45, v1
	s_delay_alu instid0(VALU_DEP_1)
	v_add_nc_u32_e32 v1, v0, v2
	ds_store_2addr_b64 v22, v[3:4], v[5:6] offset0:2 offset1:3
	ds_store_2addr_b64 v28, v[44:45], v[0:1] offset0:2 offset1:3
	s_waitcnt lgkmcnt(0)
	s_barrier
	buffer_gl0_inv
	ds_load_b32 v0, v37
	ds_load_b32 v1, v40
	;; [unrolled: 1-line block ×4, first 2 shown]
	v_lshlrev_b32_e32 v4, 2, v33
	v_lshlrev_b32_e32 v5, 2, v36
	;; [unrolled: 1-line block ×6, first 2 shown]
	s_waitcnt lgkmcnt(0)
	v_lshlrev_b32_e32 v0, 2, v0
	v_lshlrev_b32_e32 v1, 2, v1
	;; [unrolled: 1-line block ×3, first 2 shown]
	v_lshl_add_u32 v33, v3, 2, v4
	s_delay_alu instid0(VALU_DEP_4) | instskip(NEXT) | instid1(VALU_DEP_4)
	v_add3_u32 v34, v5, v6, v0
	v_add3_u32 v35, v7, v35, v1
	s_delay_alu instid0(VALU_DEP_4)
	v_add3_u32 v36, v36, v37, v2
	s_cbranch_scc0 .LBB30_51
; %bb.67:
                                        ; implicit-def: $vgpr7
                                        ; implicit-def: $vgpr5
                                        ; implicit-def: $vgpr0
                                        ; implicit-def: $vgpr2
                                        ; implicit-def: $sgpr4
.LBB30_68:
	v_lshlrev_b32_e32 v14, 2, v21
	s_barrier
	buffer_gl0_inv
	ds_store_b32 v33, v17
	ds_store_b32 v34, v31
	;; [unrolled: 1-line block ×4, first 2 shown]
	s_waitcnt lgkmcnt(0)
	s_barrier
	buffer_gl0_inv
	ds_load_2addr_b64 v[5:8], v14 offset1:1
	s_waitcnt lgkmcnt(0)
	s_barrier
	buffer_gl0_inv
	ds_store_b32 v33, v29
	ds_store_b32 v34, v20
	;; [unrolled: 1-line block ×4, first 2 shown]
	s_waitcnt lgkmcnt(0)
	s_barrier
.LBB30_69:
	s_waitcnt vmcnt(0)
	buffer_gl0_inv
	ds_load_2addr_b32 v[0:1], v14 offset1:1
	ds_load_2addr_b32 v[2:3], v14 offset0:2 offset1:3
	v_xor_b32_e32 v4, 0x80008000, v5
	v_xor_b32_e32 v5, 0x80008000, v6
	;; [unrolled: 1-line block ×4, first 2 shown]
	global_store_b128 v[11:12], v[4:7], off
	s_waitcnt lgkmcnt(0)
	global_store_b128 v[9:10], v[0:3], off
	s_nop 0
	s_sendmsg sendmsg(MSG_DEALLOC_VGPRS)
	s_endpgm
	.section	.rodata,"a",@progbits
	.p2align	6, 0x0
	.amdhsa_kernel _Z21sort_key_value_kernelILj128ELj4ELb0ELb0EN10test_utils16custom_test_typeIsEEiEvPT3_PT4_jj
		.amdhsa_group_segment_fixed_size 4112
		.amdhsa_private_segment_fixed_size 0
		.amdhsa_kernarg_size 280
		.amdhsa_user_sgpr_count 15
		.amdhsa_user_sgpr_dispatch_ptr 0
		.amdhsa_user_sgpr_queue_ptr 0
		.amdhsa_user_sgpr_kernarg_segment_ptr 1
		.amdhsa_user_sgpr_dispatch_id 0
		.amdhsa_user_sgpr_private_segment_size 0
		.amdhsa_wavefront_size32 1
		.amdhsa_uses_dynamic_stack 0
		.amdhsa_enable_private_segment 0
		.amdhsa_system_sgpr_workgroup_id_x 1
		.amdhsa_system_sgpr_workgroup_id_y 0
		.amdhsa_system_sgpr_workgroup_id_z 0
		.amdhsa_system_sgpr_workgroup_info 0
		.amdhsa_system_vgpr_workitem_id 2
		.amdhsa_next_free_vgpr 74
		.amdhsa_next_free_sgpr 37
		.amdhsa_reserve_vcc 1
		.amdhsa_float_round_mode_32 0
		.amdhsa_float_round_mode_16_64 0
		.amdhsa_float_denorm_mode_32 3
		.amdhsa_float_denorm_mode_16_64 3
		.amdhsa_dx10_clamp 1
		.amdhsa_ieee_mode 1
		.amdhsa_fp16_overflow 0
		.amdhsa_workgroup_processor_mode 1
		.amdhsa_memory_ordered 1
		.amdhsa_forward_progress 0
		.amdhsa_shared_vgpr_count 0
		.amdhsa_exception_fp_ieee_invalid_op 0
		.amdhsa_exception_fp_denorm_src 0
		.amdhsa_exception_fp_ieee_div_zero 0
		.amdhsa_exception_fp_ieee_overflow 0
		.amdhsa_exception_fp_ieee_underflow 0
		.amdhsa_exception_fp_ieee_inexact 0
		.amdhsa_exception_int_div_zero 0
	.end_amdhsa_kernel
	.section	.text._Z21sort_key_value_kernelILj128ELj4ELb0ELb0EN10test_utils16custom_test_typeIsEEiEvPT3_PT4_jj,"axG",@progbits,_Z21sort_key_value_kernelILj128ELj4ELb0ELb0EN10test_utils16custom_test_typeIsEEiEvPT3_PT4_jj,comdat
.Lfunc_end30:
	.size	_Z21sort_key_value_kernelILj128ELj4ELb0ELb0EN10test_utils16custom_test_typeIsEEiEvPT3_PT4_jj, .Lfunc_end30-_Z21sort_key_value_kernelILj128ELj4ELb0ELb0EN10test_utils16custom_test_typeIsEEiEvPT3_PT4_jj
                                        ; -- End function
	.section	.AMDGPU.csdata,"",@progbits
; Kernel info:
; codeLenInByte = 11924
; NumSgprs: 39
; NumVgprs: 74
; ScratchSize: 0
; MemoryBound: 0
; FloatMode: 240
; IeeeMode: 1
; LDSByteSize: 4112 bytes/workgroup (compile time only)
; SGPRBlocks: 4
; VGPRBlocks: 9
; NumSGPRsForWavesPerEU: 39
; NumVGPRsForWavesPerEU: 74
; Occupancy: 16
; WaveLimiterHint : 0
; COMPUTE_PGM_RSRC2:SCRATCH_EN: 0
; COMPUTE_PGM_RSRC2:USER_SGPR: 15
; COMPUTE_PGM_RSRC2:TRAP_HANDLER: 0
; COMPUTE_PGM_RSRC2:TGID_X_EN: 1
; COMPUTE_PGM_RSRC2:TGID_Y_EN: 0
; COMPUTE_PGM_RSRC2:TGID_Z_EN: 0
; COMPUTE_PGM_RSRC2:TIDIG_COMP_CNT: 2
	.section	.text._Z21sort_key_value_kernelILj60ELj1ELb0ELb1EtdEvPT3_PT4_jj,"axG",@progbits,_Z21sort_key_value_kernelILj60ELj1ELb0ELb1EtdEvPT3_PT4_jj,comdat
	.protected	_Z21sort_key_value_kernelILj60ELj1ELb0ELb1EtdEvPT3_PT4_jj ; -- Begin function _Z21sort_key_value_kernelILj60ELj1ELb0ELb1EtdEvPT3_PT4_jj
	.globl	_Z21sort_key_value_kernelILj60ELj1ELb0ELb1EtdEvPT3_PT4_jj
	.p2align	8
	.type	_Z21sort_key_value_kernelILj60ELj1ELb0ELb1EtdEvPT3_PT4_jj,@function
_Z21sort_key_value_kernelILj60ELj1ELb0ELb1EtdEvPT3_PT4_jj: ; @_Z21sort_key_value_kernelILj60ELj1ELb0ELb1EtdEvPT3_PT4_jj
; %bb.0:
	s_clause 0x1
	s_load_b128 s[4:7], s[0:1], 0x0
	s_load_b64 s[22:23], s[0:1], 0x10
	v_mbcnt_lo_u32_b32 v2, -1, 0
	s_mov_b32 s3, 0
	s_mul_i32 s2, s15, 60
	v_lshlrev_b32_e32 v12, 3, v0
	s_lshl_b64 s[8:9], s[2:3], 1
	v_add_nc_u32_e32 v6, -1, v2
	v_and_b32_e32 v3, 15, v2
	v_and_b32_e32 v4, 16, v2
	;; [unrolled: 1-line block ×3, first 2 shown]
	v_lshlrev_b32_e32 v15, 5, v0
	v_cmp_gt_i32_e32 vcc_lo, 0, v6
	v_lshlrev_b32_e32 v11, 1, v0
	v_and_b32_e32 v5, 32, v0
	v_lshrrev_b32_e32 v7, 3, v0
	v_mad_i32_i24 v20, 0xffffffe4, v0, v15
	v_cmp_gt_u32_e64 s10, 0x1e0, v0
	v_lshlrev_b32_e32 v21, 2, v0
	s_delay_alu instid0(VALU_DEP_4)
	v_and_b32_e32 v19, 4, v7
	s_waitcnt lgkmcnt(0)
	s_add_u32 s18, s4, s8
	s_addc_u32 s19, s5, s9
	s_lshl_b64 s[0:1], s[2:3], 3
	v_cmp_eq_u32_e64 s8, 0, v3
	s_add_u32 s20, s6, s0
	v_cmp_eq_u32_e64 s0, 0, v2
	v_cndmask_b32_e32 v2, v6, v2, vcc_lo
	global_load_u16 v1, v11, s[18:19]
	s_addc_u32 s21, s7, s1
	v_cmp_lt_u32_e64 s7, 1, v3
	global_load_b64 v[13:14], v12, s[20:21]
	v_cmp_lt_u32_e64 s6, 3, v3
	v_cmp_lt_u32_e64 s5, 7, v3
	v_min_u32_e32 v3, 28, v5
	s_cmp_eq_u32 s22, 0
	v_sub_nc_u32_e32 v17, v20, v11
	s_cselect_b32 s11, -1, 0
	s_cmp_eq_u32 s23, 16
	v_add_nc_u32_e32 v3, 31, v3
	s_cselect_b32 s12, -1, 0
	v_cmp_gt_u32_e64 s2, 2, v0
	s_and_b32 s11, s11, s12
	v_cmp_lt_u32_e64 s1, 31, v0
	v_cmp_eq_u32_e64 s4, 0, v4
	v_cmp_eq_u32_e64 s3, 0, v8
	v_lshlrev_b32_e32 v18, 2, v2
	v_cmp_eq_u32_e64 s9, v3, v0
	v_mad_u32_u24 v16, v0, 6, v17
	s_and_b32 vcc_lo, exec_lo, s11
	v_cmp_gt_u32_e64 s11, 0x1a4, v0
	s_mov_b32 s12, -1
	s_waitcnt vmcnt(1)
	v_xor_b32_e32 v22, -1, v1
	s_cbranch_vccnz .LBB31_21
; %bb.1:
	s_waitcnt vmcnt(0)
	v_mov_b32_e32 v1, v13
	v_cmp_gt_u32_e64 s12, 0x168, v0
	v_cmp_gt_u32_e64 s13, 0x12c, v0
	;; [unrolled: 1-line block ×6, first 2 shown]
	v_dual_mov_b32 v23, 0 :: v_dual_mov_b32 v2, v14
	v_mov_b32_e32 v5, v22
	s_sub_i32 s24, s23, s22
	s_branch .LBB31_3
.LBB31_2:                               ;   in Loop: Header=BB31_3 Depth=1
	s_delay_alu instid0(VALU_DEP_1)
	v_add_nc_u32_e32 v1, v3, v4
	s_barrier
	buffer_gl0_inv
	ds_store_b16 v3, v24
	s_waitcnt lgkmcnt(0)
	s_barrier
	buffer_gl0_inv
	ds_load_u16 v5, v17
	s_waitcnt lgkmcnt(0)
	s_barrier
	buffer_gl0_inv
	ds_store_b64 v1, v[9:10]
	s_waitcnt lgkmcnt(0)
	s_barrier
	buffer_gl0_inv
	ds_load_b64 v[1:2], v16
	s_add_i32 s24, s24, -4
	s_waitcnt lgkmcnt(0)
	s_barrier
	buffer_gl0_inv
	s_cbranch_execz .LBB31_20
.LBB31_3:                               ; =>This Inner Loop Header: Depth=1
	s_delay_alu instid0(VALU_DEP_1)
	v_mov_b32_e32 v24, v5
	v_dual_mov_b32 v10, v2 :: v_dual_mov_b32 v9, v1
	s_and_saveexec_b32 s25, s10
	s_cbranch_execz .LBB31_12
; %bb.4:                                ;   in Loop: Header=BB31_3 Depth=1
	ds_store_b32 v21, v23
	s_and_b32 exec_lo, exec_lo, s11
	s_cbranch_execz .LBB31_12
; %bb.5:                                ;   in Loop: Header=BB31_3 Depth=1
	ds_store_b32 v21, v23 offset:240
	s_and_b32 exec_lo, exec_lo, s12
	s_cbranch_execz .LBB31_12
; %bb.6:                                ;   in Loop: Header=BB31_3 Depth=1
	ds_store_b32 v21, v23 offset:480
	;; [unrolled: 4-line block ×5, first 2 shown]
	s_and_b32 exec_lo, exec_lo, s16
	s_cbranch_execz .LBB31_12
; %bb.10:                               ;   in Loop: Header=BB31_3 Depth=1
	ds_store_b32 v21, v23 offset:1440
	s_and_b32 exec_lo, exec_lo, s17
	s_cbranch_execz .LBB31_12
; %bb.11:                               ;   in Loop: Header=BB31_3 Depth=1
	ds_store_b32 v21, v23 offset:1680
.LBB31_12:                              ;   in Loop: Header=BB31_3 Depth=1
	s_or_b32 exec_lo, exec_lo, s25
	v_and_b32_e32 v1, 0xffff, v24
	s_min_u32 s25, s24, 4
	s_delay_alu instid0(VALU_DEP_1) | instskip(NEXT) | instid1(VALU_DEP_1)
	v_lshrrev_b32_e32 v1, s22, v1
	v_bfe_u32 v1, v1, 0, s25
	s_delay_alu instid0(VALU_DEP_1) | instskip(SKIP_1) | instid1(VALU_DEP_2)
	v_and_b32_e32 v2, 7, v1
	v_lshrrev_b32_e32 v1, 3, v1
	v_mul_u32_u24_e32 v2, 60, v2
	s_delay_alu instid0(VALU_DEP_1) | instskip(NEXT) | instid1(VALU_DEP_1)
	v_add_lshl_u32 v2, v2, v0, 1
	v_add_lshl_u32 v25, v2, v1, 1
	ds_load_u16 v26, v25
	s_waitcnt lgkmcnt(0)
	v_add_nc_u16 v1, v26, 1
	ds_store_b16 v25, v1
	s_waitcnt lgkmcnt(0)
	s_barrier
	buffer_gl0_inv
	ds_load_2addr_b64 v[5:8], v15 offset1:1
	ds_load_2addr_b64 v[1:4], v15 offset0:2 offset1:3
	s_waitcnt lgkmcnt(1)
	v_add_nc_u32_e32 v27, v6, v5
	s_delay_alu instid0(VALU_DEP_1) | instskip(SKIP_1) | instid1(VALU_DEP_1)
	v_add3_u32 v27, v27, v7, v8
	s_waitcnt lgkmcnt(0)
	v_add3_u32 v27, v27, v1, v2
	s_delay_alu instid0(VALU_DEP_1) | instskip(NEXT) | instid1(VALU_DEP_1)
	v_add3_u32 v4, v27, v3, v4
	v_mov_b32_dpp v27, v4 row_shr:1 row_mask:0xf bank_mask:0xf
	s_delay_alu instid0(VALU_DEP_1) | instskip(NEXT) | instid1(VALU_DEP_1)
	v_cndmask_b32_e64 v27, v27, 0, s8
	v_add_nc_u32_e32 v4, v27, v4
	s_delay_alu instid0(VALU_DEP_1) | instskip(NEXT) | instid1(VALU_DEP_1)
	v_mov_b32_dpp v27, v4 row_shr:2 row_mask:0xf bank_mask:0xf
	v_cndmask_b32_e64 v27, 0, v27, s7
	s_delay_alu instid0(VALU_DEP_1) | instskip(NEXT) | instid1(VALU_DEP_1)
	v_add_nc_u32_e32 v4, v4, v27
	v_mov_b32_dpp v27, v4 row_shr:4 row_mask:0xf bank_mask:0xf
	s_delay_alu instid0(VALU_DEP_1) | instskip(NEXT) | instid1(VALU_DEP_1)
	v_cndmask_b32_e64 v27, 0, v27, s6
	v_add_nc_u32_e32 v4, v4, v27
	s_delay_alu instid0(VALU_DEP_1) | instskip(NEXT) | instid1(VALU_DEP_1)
	v_mov_b32_dpp v27, v4 row_shr:8 row_mask:0xf bank_mask:0xf
	v_cndmask_b32_e64 v27, 0, v27, s5
	s_delay_alu instid0(VALU_DEP_1) | instskip(SKIP_3) | instid1(VALU_DEP_1)
	v_add_nc_u32_e32 v4, v4, v27
	ds_swizzle_b32 v27, v4 offset:swizzle(BROADCAST,32,15)
	s_waitcnt lgkmcnt(0)
	v_cndmask_b32_e64 v27, v27, 0, s4
	v_add_nc_u32_e32 v4, v4, v27
	s_and_saveexec_b32 s25, s9
	s_cbranch_execz .LBB31_14
; %bb.13:                               ;   in Loop: Header=BB31_3 Depth=1
	ds_store_b32 v19, v4 offset:1920
.LBB31_14:                              ;   in Loop: Header=BB31_3 Depth=1
	s_or_b32 exec_lo, exec_lo, s25
	s_waitcnt lgkmcnt(0)
	s_barrier
	buffer_gl0_inv
	s_and_saveexec_b32 s25, s2
	s_cbranch_execz .LBB31_16
; %bb.15:                               ;   in Loop: Header=BB31_3 Depth=1
	ds_load_b32 v27, v20 offset:1920
	s_waitcnt lgkmcnt(0)
	v_mov_b32_dpp v28, v27 row_shr:1 row_mask:0xf bank_mask:0xf
	s_delay_alu instid0(VALU_DEP_1) | instskip(NEXT) | instid1(VALU_DEP_1)
	v_cndmask_b32_e64 v28, v28, 0, s3
	v_add_nc_u32_e32 v27, v28, v27
	ds_store_b32 v20, v27 offset:1920
.LBB31_16:                              ;   in Loop: Header=BB31_3 Depth=1
	s_or_b32 exec_lo, exec_lo, s25
	v_mov_b32_e32 v27, 0
	s_waitcnt lgkmcnt(0)
	s_barrier
	buffer_gl0_inv
	s_and_saveexec_b32 s25, s1
	s_cbranch_execz .LBB31_18
; %bb.17:                               ;   in Loop: Header=BB31_3 Depth=1
	ds_load_b32 v27, v19 offset:1916
.LBB31_18:                              ;   in Loop: Header=BB31_3 Depth=1
	s_or_b32 exec_lo, exec_lo, s25
	s_waitcnt lgkmcnt(0)
	v_add_nc_u32_e32 v4, v27, v4
	ds_load_b32 v28, v23 offset:1924
	s_add_i32 s22, s22, 4
	s_delay_alu instid0(SALU_CYCLE_1) | instskip(SKIP_3) | instid1(VALU_DEP_1)
	s_cmp_ge_u32 s22, s23
	ds_bpermute_b32 v4, v18, v4
	s_waitcnt lgkmcnt(0)
	v_cndmask_b32_e64 v4, v4, v27, s0
	v_lshl_add_u32 v4, v28, 16, v4
	s_delay_alu instid0(VALU_DEP_1) | instskip(NEXT) | instid1(VALU_DEP_1)
	v_add_nc_u32_e32 v5, v4, v5
	v_add_nc_u32_e32 v6, v5, v6
	s_delay_alu instid0(VALU_DEP_1) | instskip(NEXT) | instid1(VALU_DEP_1)
	v_add_nc_u32_e32 v7, v6, v7
	v_add_nc_u32_e32 v27, v7, v8
	;; [unrolled: 3-line block ×3, first 2 shown]
	s_delay_alu instid0(VALU_DEP_1)
	v_add_nc_u32_e32 v2, v1, v3
	ds_store_2addr_b64 v15, v[4:5], v[6:7] offset1:1
	ds_store_2addr_b64 v15, v[27:28], v[1:2] offset0:2 offset1:3
	s_waitcnt lgkmcnt(0)
	s_barrier
	buffer_gl0_inv
	ds_load_u16 v1, v25
	v_and_b32_e32 v2, 0xffff, v26
	s_waitcnt lgkmcnt(0)
	s_delay_alu instid0(VALU_DEP_1) | instskip(NEXT) | instid1(VALU_DEP_1)
	v_add_nc_u32_e32 v1, v1, v2
	v_lshlrev_b32_e32 v3, 1, v1
	v_mul_u32_u24_e32 v4, 6, v1
	s_cbranch_scc0 .LBB31_2
; %bb.19:
                                        ; implicit-def: $vgpr5
                                        ; implicit-def: $vgpr1_vgpr2
                                        ; implicit-def: $sgpr24
.LBB31_20:
	s_barrier
	buffer_gl0_inv
	ds_store_b16 v3, v24
	s_waitcnt lgkmcnt(0)
	s_barrier
	buffer_gl0_inv
	ds_load_u16 v1, v17
	v_add_nc_u32_e32 v2, v3, v4
	s_mov_b32 s12, 0
	s_waitcnt lgkmcnt(0)
	s_barrier
	buffer_gl0_inv
	ds_store_b64 v2, v[9:10]
	s_waitcnt lgkmcnt(0)
	s_barrier
	s_branch .LBB31_22
.LBB31_21:
                                        ; implicit-def: $vgpr1
.LBB31_22:
	v_add_co_u32 v9, s11, s18, v11
	s_delay_alu instid0(VALU_DEP_1) | instskip(SKIP_1) | instid1(VALU_DEP_1)
	v_add_co_ci_u32_e64 v10, null, s19, 0, s11
	v_add_co_u32 v11, s11, s20, v12
	v_add_co_ci_u32_e64 v12, null, s21, 0, s11
	s_and_b32 vcc_lo, exec_lo, s12
	s_cbranch_vccz .LBB31_84
; %bb.23:
	s_and_saveexec_b32 s11, s10
	s_cbranch_execz .LBB31_32
; %bb.24:
	v_mov_b32_e32 v2, 0
	v_sub_nc_u32_e32 v1, v16, v21
	v_cmp_gt_u32_e32 vcc_lo, 0x1a4, v0
	ds_store_b32 v1, v2
	s_and_b32 exec_lo, exec_lo, vcc_lo
	s_cbranch_execz .LBB31_32
; %bb.25:
	v_sub_nc_u32_e32 v1, 0, v21
	v_cmp_gt_u32_e32 vcc_lo, 0x168, v0
	s_delay_alu instid0(VALU_DEP_2)
	v_add_nc_u32_e32 v1, v16, v1
	ds_store_b32 v1, v2 offset:240
	s_and_b32 exec_lo, exec_lo, vcc_lo
	s_cbranch_execz .LBB31_32
; %bb.26:
	v_mov_b32_e32 v2, 0
	v_cmp_gt_u32_e32 vcc_lo, 0x12c, v0
	ds_store_b32 v1, v2 offset:480
	s_and_b32 exec_lo, exec_lo, vcc_lo
	s_cbranch_execz .LBB31_32
; %bb.27:
	v_cmp_gt_u32_e32 vcc_lo, 0xf0, v0
	ds_store_b32 v1, v2 offset:720
	s_and_b32 exec_lo, exec_lo, vcc_lo
	s_cbranch_execz .LBB31_32
; %bb.28:
	v_mov_b32_e32 v2, 0
	v_cmp_gt_u32_e32 vcc_lo, 0xb4, v0
	ds_store_b32 v1, v2 offset:960
	s_and_b32 exec_lo, exec_lo, vcc_lo
	s_cbranch_execz .LBB31_32
; %bb.29:
	v_cmp_gt_u32_e32 vcc_lo, 0x78, v0
	ds_store_b32 v1, v2 offset:1200
	s_and_b32 exec_lo, exec_lo, vcc_lo
	s_cbranch_execz .LBB31_32
; %bb.30:
	v_mov_b32_e32 v2, 0
	v_cmp_gt_u32_e32 vcc_lo, 60, v0
	ds_store_b32 v1, v2 offset:1440
	s_and_b32 exec_lo, exec_lo, vcc_lo
	s_cbranch_execz .LBB31_32
; %bb.31:
	ds_store_b32 v1, v2 offset:1680
.LBB31_32:
	s_or_b32 exec_lo, exec_lo, s11
	v_and_b32_e32 v1, 0xffff, v22
	s_delay_alu instid0(VALU_DEP_1) | instskip(SKIP_1) | instid1(VALU_DEP_2)
	v_and_b32_e32 v2, 7, v1
	v_lshrrev_b32_e32 v1, 2, v1
	v_mad_u32_u24 v2, v2, 60, v0
	s_delay_alu instid0(VALU_DEP_2) | instskip(NEXT) | instid1(VALU_DEP_1)
	v_and_b32_e32 v1, 2, v1
	v_lshl_or_b32 v23, v2, 2, v1
	ds_load_u16 v24, v23
	s_waitcnt lgkmcnt(0)
	v_add_nc_u16 v1, v24, 1
	ds_store_b16 v23, v1
	s_waitcnt vmcnt(0) lgkmcnt(0)
	s_barrier
	buffer_gl0_inv
	ds_load_2addr_b64 v[5:8], v15 offset1:1
	ds_load_2addr_b64 v[1:4], v15 offset0:2 offset1:3
	s_waitcnt lgkmcnt(1)
	v_add_nc_u32_e32 v25, v6, v5
	s_delay_alu instid0(VALU_DEP_1) | instskip(SKIP_1) | instid1(VALU_DEP_1)
	v_add3_u32 v25, v25, v7, v8
	s_waitcnt lgkmcnt(0)
	v_add3_u32 v25, v25, v1, v2
	s_delay_alu instid0(VALU_DEP_1) | instskip(NEXT) | instid1(VALU_DEP_1)
	v_add3_u32 v4, v25, v3, v4
	v_mov_b32_dpp v25, v4 row_shr:1 row_mask:0xf bank_mask:0xf
	s_delay_alu instid0(VALU_DEP_1) | instskip(NEXT) | instid1(VALU_DEP_1)
	v_cndmask_b32_e64 v25, v25, 0, s8
	v_add_nc_u32_e32 v4, v25, v4
	s_delay_alu instid0(VALU_DEP_1) | instskip(NEXT) | instid1(VALU_DEP_1)
	v_mov_b32_dpp v25, v4 row_shr:2 row_mask:0xf bank_mask:0xf
	v_cndmask_b32_e64 v25, 0, v25, s7
	s_delay_alu instid0(VALU_DEP_1) | instskip(NEXT) | instid1(VALU_DEP_1)
	v_add_nc_u32_e32 v4, v4, v25
	v_mov_b32_dpp v25, v4 row_shr:4 row_mask:0xf bank_mask:0xf
	s_delay_alu instid0(VALU_DEP_1) | instskip(NEXT) | instid1(VALU_DEP_1)
	v_cndmask_b32_e64 v25, 0, v25, s6
	v_add_nc_u32_e32 v4, v4, v25
	s_delay_alu instid0(VALU_DEP_1) | instskip(NEXT) | instid1(VALU_DEP_1)
	v_mov_b32_dpp v25, v4 row_shr:8 row_mask:0xf bank_mask:0xf
	v_cndmask_b32_e64 v25, 0, v25, s5
	s_delay_alu instid0(VALU_DEP_1) | instskip(SKIP_3) | instid1(VALU_DEP_1)
	v_add_nc_u32_e32 v4, v4, v25
	ds_swizzle_b32 v25, v4 offset:swizzle(BROADCAST,32,15)
	s_waitcnt lgkmcnt(0)
	v_cndmask_b32_e64 v25, v25, 0, s4
	v_add_nc_u32_e32 v4, v4, v25
	s_and_saveexec_b32 s11, s9
	s_cbranch_execz .LBB31_34
; %bb.33:
	ds_store_b32 v19, v4 offset:1920
.LBB31_34:
	s_or_b32 exec_lo, exec_lo, s11
	s_waitcnt lgkmcnt(0)
	s_barrier
	buffer_gl0_inv
	s_and_saveexec_b32 s11, s2
	s_cbranch_execz .LBB31_36
; %bb.35:
	ds_load_b32 v25, v20 offset:1920
	s_waitcnt lgkmcnt(0)
	v_mov_b32_dpp v26, v25 row_shr:1 row_mask:0xf bank_mask:0xf
	s_delay_alu instid0(VALU_DEP_1) | instskip(NEXT) | instid1(VALU_DEP_1)
	v_cndmask_b32_e64 v26, v26, 0, s3
	v_add_nc_u32_e32 v25, v26, v25
	ds_store_b32 v20, v25 offset:1920
.LBB31_36:
	s_or_b32 exec_lo, exec_lo, s11
	v_dual_mov_b32 v25, 0 :: v_dual_mov_b32 v26, 0
	s_waitcnt lgkmcnt(0)
	s_barrier
	buffer_gl0_inv
	s_and_saveexec_b32 s11, s1
	s_cbranch_execz .LBB31_38
; %bb.37:
	ds_load_b32 v26, v19 offset:1916
.LBB31_38:
	s_or_b32 exec_lo, exec_lo, s11
	s_waitcnt lgkmcnt(0)
	v_add_nc_u32_e32 v4, v26, v4
	ds_load_b32 v25, v25 offset:1924
	ds_bpermute_b32 v4, v18, v4
	s_waitcnt lgkmcnt(0)
	v_cndmask_b32_e64 v4, v4, v26, s0
	s_delay_alu instid0(VALU_DEP_1) | instskip(NEXT) | instid1(VALU_DEP_1)
	v_lshl_add_u32 v4, v25, 16, v4
	v_add_nc_u32_e32 v5, v4, v5
	s_delay_alu instid0(VALU_DEP_1) | instskip(NEXT) | instid1(VALU_DEP_1)
	v_add_nc_u32_e32 v6, v5, v6
	v_add_nc_u32_e32 v7, v6, v7
	s_delay_alu instid0(VALU_DEP_1) | instskip(NEXT) | instid1(VALU_DEP_1)
	v_add_nc_u32_e32 v25, v7, v8
	;; [unrolled: 3-line block ×3, first 2 shown]
	v_add_nc_u32_e32 v2, v1, v3
	ds_store_2addr_b64 v15, v[4:5], v[6:7] offset1:1
	ds_store_2addr_b64 v15, v[25:26], v[1:2] offset0:2 offset1:3
	s_waitcnt lgkmcnt(0)
	s_barrier
	buffer_gl0_inv
	ds_load_u16 v1, v23
	v_and_b32_e32 v2, 0xffff, v24
	s_waitcnt lgkmcnt(0)
	s_barrier
	buffer_gl0_inv
	v_add_nc_u32_e32 v1, v1, v2
	s_delay_alu instid0(VALU_DEP_1) | instskip(NEXT) | instid1(VALU_DEP_1)
	v_lshlrev_b32_e32 v2, 1, v1
	v_mad_u32_u24 v1, v1, 6, v2
	ds_store_b16 v2, v22
	s_waitcnt lgkmcnt(0)
	s_barrier
	buffer_gl0_inv
	ds_load_u16 v22, v17
	s_waitcnt lgkmcnt(0)
	s_barrier
	buffer_gl0_inv
	ds_store_b64 v1, v[13:14]
	s_waitcnt lgkmcnt(0)
	s_barrier
	buffer_gl0_inv
	ds_load_b64 v[13:14], v16
	s_waitcnt lgkmcnt(0)
	s_barrier
	buffer_gl0_inv
	s_and_saveexec_b32 s11, s10
	s_cbranch_execz .LBB31_47
; %bb.39:
	v_mov_b32_e32 v1, 0
	v_cmp_gt_u32_e32 vcc_lo, 0x1a4, v0
	ds_store_b32 v21, v1
	s_and_b32 exec_lo, exec_lo, vcc_lo
	s_cbranch_execz .LBB31_47
; %bb.40:
	v_cmp_gt_u32_e32 vcc_lo, 0x168, v0
	ds_store_b32 v21, v1 offset:240
	s_and_b32 exec_lo, exec_lo, vcc_lo
	s_cbranch_execz .LBB31_47
; %bb.41:
	v_mov_b32_e32 v1, 0
	v_cmp_gt_u32_e32 vcc_lo, 0x12c, v0
	ds_store_b32 v21, v1 offset:480
	s_and_b32 exec_lo, exec_lo, vcc_lo
	s_cbranch_execz .LBB31_47
; %bb.42:
	v_cmp_gt_u32_e32 vcc_lo, 0xf0, v0
	ds_store_b32 v21, v1 offset:720
	s_and_b32 exec_lo, exec_lo, vcc_lo
	s_cbranch_execz .LBB31_47
; %bb.43:
	v_mov_b32_e32 v1, 0
	v_cmp_gt_u32_e32 vcc_lo, 0xb4, v0
	ds_store_b32 v21, v1 offset:960
	;; [unrolled: 11-line block ×3, first 2 shown]
	s_and_b32 exec_lo, exec_lo, vcc_lo
	s_cbranch_execz .LBB31_47
; %bb.46:
	ds_store_b32 v21, v1 offset:1680
.LBB31_47:
	s_or_b32 exec_lo, exec_lo, s11
	v_lshrrev_b16 v1, 4, v22
	s_delay_alu instid0(VALU_DEP_1) | instskip(NEXT) | instid1(VALU_DEP_1)
	v_and_b32_e32 v1, 0xffff, v1
	v_and_b32_e32 v2, 7, v1
	v_lshrrev_b32_e32 v1, 2, v1
	s_delay_alu instid0(VALU_DEP_2) | instskip(NEXT) | instid1(VALU_DEP_2)
	v_mad_u32_u24 v2, v2, 60, v0
	v_and_b32_e32 v1, 2, v1
	s_delay_alu instid0(VALU_DEP_1)
	v_lshl_or_b32 v23, v2, 2, v1
	ds_load_u16 v24, v23
	s_waitcnt lgkmcnt(0)
	v_add_nc_u16 v1, v24, 1
	ds_store_b16 v23, v1
	s_waitcnt lgkmcnt(0)
	s_barrier
	buffer_gl0_inv
	ds_load_2addr_b64 v[5:8], v15 offset1:1
	ds_load_2addr_b64 v[1:4], v15 offset0:2 offset1:3
	s_waitcnt lgkmcnt(1)
	v_add_nc_u32_e32 v25, v6, v5
	s_delay_alu instid0(VALU_DEP_1) | instskip(SKIP_1) | instid1(VALU_DEP_1)
	v_add3_u32 v25, v25, v7, v8
	s_waitcnt lgkmcnt(0)
	v_add3_u32 v25, v25, v1, v2
	s_delay_alu instid0(VALU_DEP_1) | instskip(NEXT) | instid1(VALU_DEP_1)
	v_add3_u32 v4, v25, v3, v4
	v_mov_b32_dpp v25, v4 row_shr:1 row_mask:0xf bank_mask:0xf
	s_delay_alu instid0(VALU_DEP_1) | instskip(NEXT) | instid1(VALU_DEP_1)
	v_cndmask_b32_e64 v25, v25, 0, s8
	v_add_nc_u32_e32 v4, v25, v4
	s_delay_alu instid0(VALU_DEP_1) | instskip(NEXT) | instid1(VALU_DEP_1)
	v_mov_b32_dpp v25, v4 row_shr:2 row_mask:0xf bank_mask:0xf
	v_cndmask_b32_e64 v25, 0, v25, s7
	s_delay_alu instid0(VALU_DEP_1) | instskip(NEXT) | instid1(VALU_DEP_1)
	v_add_nc_u32_e32 v4, v4, v25
	v_mov_b32_dpp v25, v4 row_shr:4 row_mask:0xf bank_mask:0xf
	s_delay_alu instid0(VALU_DEP_1) | instskip(NEXT) | instid1(VALU_DEP_1)
	v_cndmask_b32_e64 v25, 0, v25, s6
	v_add_nc_u32_e32 v4, v4, v25
	s_delay_alu instid0(VALU_DEP_1) | instskip(NEXT) | instid1(VALU_DEP_1)
	v_mov_b32_dpp v25, v4 row_shr:8 row_mask:0xf bank_mask:0xf
	v_cndmask_b32_e64 v25, 0, v25, s5
	s_delay_alu instid0(VALU_DEP_1) | instskip(SKIP_3) | instid1(VALU_DEP_1)
	v_add_nc_u32_e32 v4, v4, v25
	ds_swizzle_b32 v25, v4 offset:swizzle(BROADCAST,32,15)
	s_waitcnt lgkmcnt(0)
	v_cndmask_b32_e64 v25, v25, 0, s4
	v_add_nc_u32_e32 v4, v4, v25
	s_and_saveexec_b32 s11, s9
	s_cbranch_execz .LBB31_49
; %bb.48:
	ds_store_b32 v19, v4 offset:1920
.LBB31_49:
	s_or_b32 exec_lo, exec_lo, s11
	s_waitcnt lgkmcnt(0)
	s_barrier
	buffer_gl0_inv
	s_and_saveexec_b32 s11, s2
	s_cbranch_execz .LBB31_51
; %bb.50:
	ds_load_b32 v25, v20 offset:1920
	s_waitcnt lgkmcnt(0)
	v_mov_b32_dpp v26, v25 row_shr:1 row_mask:0xf bank_mask:0xf
	s_delay_alu instid0(VALU_DEP_1) | instskip(NEXT) | instid1(VALU_DEP_1)
	v_cndmask_b32_e64 v26, v26, 0, s3
	v_add_nc_u32_e32 v25, v26, v25
	ds_store_b32 v20, v25 offset:1920
.LBB31_51:
	s_or_b32 exec_lo, exec_lo, s11
	v_dual_mov_b32 v25, 0 :: v_dual_mov_b32 v26, 0
	s_waitcnt lgkmcnt(0)
	s_barrier
	buffer_gl0_inv
	s_and_saveexec_b32 s11, s1
	s_cbranch_execz .LBB31_53
; %bb.52:
	ds_load_b32 v26, v19 offset:1916
.LBB31_53:
	s_or_b32 exec_lo, exec_lo, s11
	s_waitcnt lgkmcnt(0)
	v_add_nc_u32_e32 v4, v26, v4
	ds_load_b32 v25, v25 offset:1924
	ds_bpermute_b32 v4, v18, v4
	s_waitcnt lgkmcnt(0)
	v_cndmask_b32_e64 v4, v4, v26, s0
	s_delay_alu instid0(VALU_DEP_1) | instskip(NEXT) | instid1(VALU_DEP_1)
	v_lshl_add_u32 v4, v25, 16, v4
	v_add_nc_u32_e32 v5, v4, v5
	s_delay_alu instid0(VALU_DEP_1) | instskip(NEXT) | instid1(VALU_DEP_1)
	v_add_nc_u32_e32 v6, v5, v6
	v_add_nc_u32_e32 v7, v6, v7
	s_delay_alu instid0(VALU_DEP_1) | instskip(NEXT) | instid1(VALU_DEP_1)
	v_add_nc_u32_e32 v25, v7, v8
	;; [unrolled: 3-line block ×3, first 2 shown]
	v_add_nc_u32_e32 v2, v1, v3
	ds_store_2addr_b64 v15, v[4:5], v[6:7] offset1:1
	ds_store_2addr_b64 v15, v[25:26], v[1:2] offset0:2 offset1:3
	s_waitcnt lgkmcnt(0)
	s_barrier
	buffer_gl0_inv
	ds_load_u16 v1, v23
	v_and_b32_e32 v2, 0xffff, v24
	s_waitcnt lgkmcnt(0)
	s_barrier
	buffer_gl0_inv
	v_add_nc_u32_e32 v1, v1, v2
	s_delay_alu instid0(VALU_DEP_1) | instskip(NEXT) | instid1(VALU_DEP_1)
	v_lshlrev_b32_e32 v2, 1, v1
	v_mad_u32_u24 v1, v1, 6, v2
	ds_store_b16 v2, v22
	s_waitcnt lgkmcnt(0)
	s_barrier
	buffer_gl0_inv
	ds_load_u16 v22, v17
	s_waitcnt lgkmcnt(0)
	s_barrier
	buffer_gl0_inv
	ds_store_b64 v1, v[13:14]
	s_waitcnt lgkmcnt(0)
	s_barrier
	buffer_gl0_inv
	ds_load_b64 v[13:14], v16
	s_waitcnt lgkmcnt(0)
	s_barrier
	buffer_gl0_inv
	s_and_saveexec_b32 s11, s10
	s_cbranch_execz .LBB31_62
; %bb.54:
	v_mov_b32_e32 v1, 0
	v_cmp_gt_u32_e32 vcc_lo, 0x1a4, v0
	ds_store_b32 v21, v1
	s_and_b32 exec_lo, exec_lo, vcc_lo
	s_cbranch_execz .LBB31_62
; %bb.55:
	v_cmp_gt_u32_e32 vcc_lo, 0x168, v0
	ds_store_b32 v21, v1 offset:240
	s_and_b32 exec_lo, exec_lo, vcc_lo
	s_cbranch_execz .LBB31_62
; %bb.56:
	v_mov_b32_e32 v1, 0
	v_cmp_gt_u32_e32 vcc_lo, 0x12c, v0
	ds_store_b32 v21, v1 offset:480
	s_and_b32 exec_lo, exec_lo, vcc_lo
	s_cbranch_execz .LBB31_62
; %bb.57:
	v_cmp_gt_u32_e32 vcc_lo, 0xf0, v0
	ds_store_b32 v21, v1 offset:720
	s_and_b32 exec_lo, exec_lo, vcc_lo
	s_cbranch_execz .LBB31_62
; %bb.58:
	v_mov_b32_e32 v1, 0
	v_cmp_gt_u32_e32 vcc_lo, 0xb4, v0
	ds_store_b32 v21, v1 offset:960
	;; [unrolled: 11-line block ×3, first 2 shown]
	s_and_b32 exec_lo, exec_lo, vcc_lo
	s_cbranch_execz .LBB31_62
; %bb.61:
	ds_store_b32 v21, v1 offset:1680
.LBB31_62:
	s_or_b32 exec_lo, exec_lo, s11
	v_lshrrev_b16 v1, 8, v22
	s_delay_alu instid0(VALU_DEP_1) | instskip(NEXT) | instid1(VALU_DEP_1)
	v_and_b32_e32 v1, 0xffff, v1
	v_and_b32_e32 v2, 7, v1
	v_lshrrev_b32_e32 v1, 2, v1
	s_delay_alu instid0(VALU_DEP_2) | instskip(NEXT) | instid1(VALU_DEP_2)
	v_mad_u32_u24 v2, v2, 60, v0
	v_and_b32_e32 v1, 2, v1
	s_delay_alu instid0(VALU_DEP_1)
	v_lshl_or_b32 v23, v2, 2, v1
	ds_load_u16 v24, v23
	s_waitcnt lgkmcnt(0)
	v_add_nc_u16 v1, v24, 1
	ds_store_b16 v23, v1
	s_waitcnt lgkmcnt(0)
	s_barrier
	buffer_gl0_inv
	ds_load_2addr_b64 v[5:8], v15 offset1:1
	ds_load_2addr_b64 v[1:4], v15 offset0:2 offset1:3
	s_waitcnt lgkmcnt(1)
	v_add_nc_u32_e32 v25, v6, v5
	s_delay_alu instid0(VALU_DEP_1) | instskip(SKIP_1) | instid1(VALU_DEP_1)
	v_add3_u32 v25, v25, v7, v8
	s_waitcnt lgkmcnt(0)
	v_add3_u32 v25, v25, v1, v2
	s_delay_alu instid0(VALU_DEP_1) | instskip(NEXT) | instid1(VALU_DEP_1)
	v_add3_u32 v4, v25, v3, v4
	v_mov_b32_dpp v25, v4 row_shr:1 row_mask:0xf bank_mask:0xf
	s_delay_alu instid0(VALU_DEP_1) | instskip(NEXT) | instid1(VALU_DEP_1)
	v_cndmask_b32_e64 v25, v25, 0, s8
	v_add_nc_u32_e32 v4, v25, v4
	s_delay_alu instid0(VALU_DEP_1) | instskip(NEXT) | instid1(VALU_DEP_1)
	v_mov_b32_dpp v25, v4 row_shr:2 row_mask:0xf bank_mask:0xf
	v_cndmask_b32_e64 v25, 0, v25, s7
	s_delay_alu instid0(VALU_DEP_1) | instskip(NEXT) | instid1(VALU_DEP_1)
	v_add_nc_u32_e32 v4, v4, v25
	v_mov_b32_dpp v25, v4 row_shr:4 row_mask:0xf bank_mask:0xf
	s_delay_alu instid0(VALU_DEP_1) | instskip(NEXT) | instid1(VALU_DEP_1)
	v_cndmask_b32_e64 v25, 0, v25, s6
	v_add_nc_u32_e32 v4, v4, v25
	s_delay_alu instid0(VALU_DEP_1) | instskip(NEXT) | instid1(VALU_DEP_1)
	v_mov_b32_dpp v25, v4 row_shr:8 row_mask:0xf bank_mask:0xf
	v_cndmask_b32_e64 v25, 0, v25, s5
	s_delay_alu instid0(VALU_DEP_1) | instskip(SKIP_3) | instid1(VALU_DEP_1)
	v_add_nc_u32_e32 v4, v4, v25
	ds_swizzle_b32 v25, v4 offset:swizzle(BROADCAST,32,15)
	s_waitcnt lgkmcnt(0)
	v_cndmask_b32_e64 v25, v25, 0, s4
	v_add_nc_u32_e32 v4, v4, v25
	s_and_saveexec_b32 s11, s9
	s_cbranch_execz .LBB31_64
; %bb.63:
	ds_store_b32 v19, v4 offset:1920
.LBB31_64:
	s_or_b32 exec_lo, exec_lo, s11
	s_waitcnt lgkmcnt(0)
	s_barrier
	buffer_gl0_inv
	s_and_saveexec_b32 s11, s2
	s_cbranch_execz .LBB31_66
; %bb.65:
	ds_load_b32 v25, v20 offset:1920
	s_waitcnt lgkmcnt(0)
	v_mov_b32_dpp v26, v25 row_shr:1 row_mask:0xf bank_mask:0xf
	s_delay_alu instid0(VALU_DEP_1) | instskip(NEXT) | instid1(VALU_DEP_1)
	v_cndmask_b32_e64 v26, v26, 0, s3
	v_add_nc_u32_e32 v25, v26, v25
	ds_store_b32 v20, v25 offset:1920
.LBB31_66:
	s_or_b32 exec_lo, exec_lo, s11
	v_dual_mov_b32 v25, 0 :: v_dual_mov_b32 v26, 0
	s_waitcnt lgkmcnt(0)
	s_barrier
	buffer_gl0_inv
	s_and_saveexec_b32 s11, s1
	s_cbranch_execz .LBB31_68
; %bb.67:
	ds_load_b32 v26, v19 offset:1916
.LBB31_68:
	s_or_b32 exec_lo, exec_lo, s11
	s_waitcnt lgkmcnt(0)
	v_add_nc_u32_e32 v4, v26, v4
	ds_load_b32 v25, v25 offset:1924
	ds_bpermute_b32 v4, v18, v4
	s_waitcnt lgkmcnt(0)
	v_cndmask_b32_e64 v4, v4, v26, s0
	s_delay_alu instid0(VALU_DEP_1) | instskip(NEXT) | instid1(VALU_DEP_1)
	v_lshl_add_u32 v4, v25, 16, v4
	v_add_nc_u32_e32 v5, v4, v5
	s_delay_alu instid0(VALU_DEP_1) | instskip(NEXT) | instid1(VALU_DEP_1)
	v_add_nc_u32_e32 v6, v5, v6
	v_add_nc_u32_e32 v7, v6, v7
	s_delay_alu instid0(VALU_DEP_1) | instskip(NEXT) | instid1(VALU_DEP_1)
	v_add_nc_u32_e32 v25, v7, v8
	;; [unrolled: 3-line block ×3, first 2 shown]
	v_add_nc_u32_e32 v2, v1, v3
	ds_store_2addr_b64 v15, v[4:5], v[6:7] offset1:1
	ds_store_2addr_b64 v15, v[25:26], v[1:2] offset0:2 offset1:3
	s_waitcnt lgkmcnt(0)
	s_barrier
	buffer_gl0_inv
	ds_load_u16 v1, v23
	v_and_b32_e32 v2, 0xffff, v24
	s_waitcnt lgkmcnt(0)
	s_barrier
	buffer_gl0_inv
	v_add_nc_u32_e32 v1, v1, v2
	s_delay_alu instid0(VALU_DEP_1) | instskip(NEXT) | instid1(VALU_DEP_1)
	v_lshlrev_b32_e32 v2, 1, v1
	v_mad_u32_u24 v1, v1, 6, v2
	ds_store_b16 v2, v22
	s_waitcnt lgkmcnt(0)
	s_barrier
	buffer_gl0_inv
	ds_load_u16 v8, v17
	s_waitcnt lgkmcnt(0)
	s_barrier
	buffer_gl0_inv
	ds_store_b64 v1, v[13:14]
	s_waitcnt lgkmcnt(0)
	s_barrier
	buffer_gl0_inv
	ds_load_b64 v[13:14], v16
	s_waitcnt lgkmcnt(0)
	s_barrier
	buffer_gl0_inv
	s_and_saveexec_b32 s11, s10
	s_cbranch_execz .LBB31_77
; %bb.69:
	v_mov_b32_e32 v1, 0
	v_cmp_gt_u32_e32 vcc_lo, 0x1a4, v0
	ds_store_b32 v21, v1
	s_and_b32 exec_lo, exec_lo, vcc_lo
	s_cbranch_execz .LBB31_77
; %bb.70:
	v_cmp_gt_u32_e32 vcc_lo, 0x168, v0
	ds_store_b32 v21, v1 offset:240
	s_and_b32 exec_lo, exec_lo, vcc_lo
	s_cbranch_execz .LBB31_77
; %bb.71:
	v_mov_b32_e32 v1, 0
	v_cmp_gt_u32_e32 vcc_lo, 0x12c, v0
	ds_store_b32 v21, v1 offset:480
	s_and_b32 exec_lo, exec_lo, vcc_lo
	s_cbranch_execz .LBB31_77
; %bb.72:
	v_cmp_gt_u32_e32 vcc_lo, 0xf0, v0
	ds_store_b32 v21, v1 offset:720
	s_and_b32 exec_lo, exec_lo, vcc_lo
	s_cbranch_execz .LBB31_77
; %bb.73:
	v_mov_b32_e32 v1, 0
	v_cmp_gt_u32_e32 vcc_lo, 0xb4, v0
	ds_store_b32 v21, v1 offset:960
	;; [unrolled: 11-line block ×3, first 2 shown]
	s_and_b32 exec_lo, exec_lo, vcc_lo
	s_cbranch_execz .LBB31_77
; %bb.76:
	ds_store_b32 v21, v1 offset:1680
.LBB31_77:
	s_or_b32 exec_lo, exec_lo, s11
	v_lshrrev_b16 v1, 12, v8
	s_delay_alu instid0(VALU_DEP_1) | instskip(NEXT) | instid1(VALU_DEP_1)
	v_and_b32_e32 v1, 0xffff, v1
	v_and_b32_e32 v2, 7, v1
	v_lshrrev_b32_e32 v1, 2, v1
	s_delay_alu instid0(VALU_DEP_2) | instskip(NEXT) | instid1(VALU_DEP_2)
	v_mad_u32_u24 v0, v2, 60, v0
	v_and_b32_e32 v1, 2, v1
	s_delay_alu instid0(VALU_DEP_1)
	v_lshl_or_b32 v21, v0, 2, v1
	ds_load_u16 v22, v21
	s_waitcnt lgkmcnt(0)
	v_add_nc_u16 v0, v22, 1
	ds_store_b16 v21, v0
	s_waitcnt lgkmcnt(0)
	s_barrier
	buffer_gl0_inv
	ds_load_2addr_b64 v[4:7], v15 offset1:1
	ds_load_2addr_b64 v[0:3], v15 offset0:2 offset1:3
	s_waitcnt lgkmcnt(1)
	v_add_nc_u32_e32 v23, v5, v4
	s_delay_alu instid0(VALU_DEP_1) | instskip(SKIP_1) | instid1(VALU_DEP_1)
	v_add3_u32 v23, v23, v6, v7
	s_waitcnt lgkmcnt(0)
	v_add3_u32 v23, v23, v0, v1
	s_delay_alu instid0(VALU_DEP_1) | instskip(NEXT) | instid1(VALU_DEP_1)
	v_add3_u32 v3, v23, v2, v3
	v_mov_b32_dpp v23, v3 row_shr:1 row_mask:0xf bank_mask:0xf
	s_delay_alu instid0(VALU_DEP_1) | instskip(NEXT) | instid1(VALU_DEP_1)
	v_cndmask_b32_e64 v23, v23, 0, s8
	v_add_nc_u32_e32 v3, v23, v3
	s_delay_alu instid0(VALU_DEP_1) | instskip(NEXT) | instid1(VALU_DEP_1)
	v_mov_b32_dpp v23, v3 row_shr:2 row_mask:0xf bank_mask:0xf
	v_cndmask_b32_e64 v23, 0, v23, s7
	s_delay_alu instid0(VALU_DEP_1) | instskip(NEXT) | instid1(VALU_DEP_1)
	v_add_nc_u32_e32 v3, v3, v23
	v_mov_b32_dpp v23, v3 row_shr:4 row_mask:0xf bank_mask:0xf
	s_delay_alu instid0(VALU_DEP_1) | instskip(NEXT) | instid1(VALU_DEP_1)
	v_cndmask_b32_e64 v23, 0, v23, s6
	v_add_nc_u32_e32 v3, v3, v23
	s_delay_alu instid0(VALU_DEP_1) | instskip(NEXT) | instid1(VALU_DEP_1)
	v_mov_b32_dpp v23, v3 row_shr:8 row_mask:0xf bank_mask:0xf
	v_cndmask_b32_e64 v23, 0, v23, s5
	s_delay_alu instid0(VALU_DEP_1) | instskip(SKIP_3) | instid1(VALU_DEP_1)
	v_add_nc_u32_e32 v3, v3, v23
	ds_swizzle_b32 v23, v3 offset:swizzle(BROADCAST,32,15)
	s_waitcnt lgkmcnt(0)
	v_cndmask_b32_e64 v23, v23, 0, s4
	v_add_nc_u32_e32 v3, v3, v23
	s_and_saveexec_b32 s4, s9
	s_cbranch_execz .LBB31_79
; %bb.78:
	ds_store_b32 v19, v3 offset:1920
.LBB31_79:
	s_or_b32 exec_lo, exec_lo, s4
	s_waitcnt lgkmcnt(0)
	s_barrier
	buffer_gl0_inv
	s_and_saveexec_b32 s4, s2
	s_cbranch_execz .LBB31_81
; %bb.80:
	ds_load_b32 v23, v20 offset:1920
	s_waitcnt lgkmcnt(0)
	v_mov_b32_dpp v24, v23 row_shr:1 row_mask:0xf bank_mask:0xf
	s_delay_alu instid0(VALU_DEP_1) | instskip(NEXT) | instid1(VALU_DEP_1)
	v_cndmask_b32_e64 v24, v24, 0, s3
	v_add_nc_u32_e32 v23, v24, v23
	ds_store_b32 v20, v23 offset:1920
.LBB31_81:
	s_or_b32 exec_lo, exec_lo, s4
	v_dual_mov_b32 v20, 0 :: v_dual_mov_b32 v23, 0
	s_waitcnt lgkmcnt(0)
	s_barrier
	buffer_gl0_inv
	s_and_saveexec_b32 s2, s1
	s_cbranch_execz .LBB31_83
; %bb.82:
	ds_load_b32 v23, v19 offset:1916
.LBB31_83:
	s_or_b32 exec_lo, exec_lo, s2
	s_waitcnt lgkmcnt(0)
	v_add_nc_u32_e32 v3, v23, v3
	ds_bpermute_b32 v3, v18, v3
	ds_load_b32 v18, v20 offset:1924
	s_waitcnt lgkmcnt(1)
	v_cndmask_b32_e64 v3, v3, v23, s0
	s_waitcnt lgkmcnt(0)
	s_delay_alu instid0(VALU_DEP_1) | instskip(NEXT) | instid1(VALU_DEP_1)
	v_lshl_add_u32 v3, v18, 16, v3
	v_add_nc_u32_e32 v4, v3, v4
	s_delay_alu instid0(VALU_DEP_1) | instskip(NEXT) | instid1(VALU_DEP_1)
	v_add_nc_u32_e32 v5, v4, v5
	v_add_nc_u32_e32 v6, v5, v6
	s_delay_alu instid0(VALU_DEP_1) | instskip(NEXT) | instid1(VALU_DEP_1)
	v_add_nc_u32_e32 v18, v6, v7
	;; [unrolled: 3-line block ×3, first 2 shown]
	v_add_nc_u32_e32 v1, v0, v2
	ds_store_2addr_b64 v15, v[3:4], v[5:6] offset1:1
	ds_store_2addr_b64 v15, v[18:19], v[0:1] offset0:2 offset1:3
	s_waitcnt lgkmcnt(0)
	s_barrier
	buffer_gl0_inv
	ds_load_u16 v0, v21
	v_and_b32_e32 v1, 0xffff, v22
	s_waitcnt lgkmcnt(0)
	s_barrier
	buffer_gl0_inv
	v_add_nc_u32_e32 v0, v0, v1
	s_delay_alu instid0(VALU_DEP_1)
	v_lshlrev_b32_e32 v2, 1, v0
	ds_store_b16 v2, v8
	s_waitcnt lgkmcnt(0)
	s_barrier
	buffer_gl0_inv
	ds_load_u16 v1, v17
	v_mad_u32_u24 v0, v0, 6, v2
	s_waitcnt lgkmcnt(0)
	s_barrier
	buffer_gl0_inv
	ds_store_b64 v0, v[13:14]
	s_waitcnt lgkmcnt(0)
	s_barrier
.LBB31_84:
	s_waitcnt vmcnt(0)
	buffer_gl0_inv
	ds_load_b64 v[2:3], v16
	v_xor_b32_e32 v0, -1, v1
	global_store_b16 v[9:10], v0, off
	s_waitcnt lgkmcnt(0)
	global_store_b64 v[11:12], v[2:3], off
	s_nop 0
	s_sendmsg sendmsg(MSG_DEALLOC_VGPRS)
	s_endpgm
	.section	.rodata,"a",@progbits
	.p2align	6, 0x0
	.amdhsa_kernel _Z21sort_key_value_kernelILj60ELj1ELb0ELb1EtdEvPT3_PT4_jj
		.amdhsa_group_segment_fixed_size 1936
		.amdhsa_private_segment_fixed_size 0
		.amdhsa_kernarg_size 24
		.amdhsa_user_sgpr_count 15
		.amdhsa_user_sgpr_dispatch_ptr 0
		.amdhsa_user_sgpr_queue_ptr 0
		.amdhsa_user_sgpr_kernarg_segment_ptr 1
		.amdhsa_user_sgpr_dispatch_id 0
		.amdhsa_user_sgpr_private_segment_size 0
		.amdhsa_wavefront_size32 1
		.amdhsa_uses_dynamic_stack 0
		.amdhsa_enable_private_segment 0
		.amdhsa_system_sgpr_workgroup_id_x 1
		.amdhsa_system_sgpr_workgroup_id_y 0
		.amdhsa_system_sgpr_workgroup_id_z 0
		.amdhsa_system_sgpr_workgroup_info 0
		.amdhsa_system_vgpr_workitem_id 0
		.amdhsa_next_free_vgpr 29
		.amdhsa_next_free_sgpr 26
		.amdhsa_reserve_vcc 1
		.amdhsa_float_round_mode_32 0
		.amdhsa_float_round_mode_16_64 0
		.amdhsa_float_denorm_mode_32 3
		.amdhsa_float_denorm_mode_16_64 3
		.amdhsa_dx10_clamp 1
		.amdhsa_ieee_mode 1
		.amdhsa_fp16_overflow 0
		.amdhsa_workgroup_processor_mode 1
		.amdhsa_memory_ordered 1
		.amdhsa_forward_progress 0
		.amdhsa_shared_vgpr_count 0
		.amdhsa_exception_fp_ieee_invalid_op 0
		.amdhsa_exception_fp_denorm_src 0
		.amdhsa_exception_fp_ieee_div_zero 0
		.amdhsa_exception_fp_ieee_overflow 0
		.amdhsa_exception_fp_ieee_underflow 0
		.amdhsa_exception_fp_ieee_inexact 0
		.amdhsa_exception_int_div_zero 0
	.end_amdhsa_kernel
	.section	.text._Z21sort_key_value_kernelILj60ELj1ELb0ELb1EtdEvPT3_PT4_jj,"axG",@progbits,_Z21sort_key_value_kernelILj60ELj1ELb0ELb1EtdEvPT3_PT4_jj,comdat
.Lfunc_end31:
	.size	_Z21sort_key_value_kernelILj60ELj1ELb0ELb1EtdEvPT3_PT4_jj, .Lfunc_end31-_Z21sort_key_value_kernelILj60ELj1ELb0ELb1EtdEvPT3_PT4_jj
                                        ; -- End function
	.section	.AMDGPU.csdata,"",@progbits
; Kernel info:
; codeLenInByte = 5016
; NumSgprs: 28
; NumVgprs: 29
; ScratchSize: 0
; MemoryBound: 0
; FloatMode: 240
; IeeeMode: 1
; LDSByteSize: 1936 bytes/workgroup (compile time only)
; SGPRBlocks: 3
; VGPRBlocks: 3
; NumSGPRsForWavesPerEU: 28
; NumVGPRsForWavesPerEU: 29
; Occupancy: 16
; WaveLimiterHint : 0
; COMPUTE_PGM_RSRC2:SCRATCH_EN: 0
; COMPUTE_PGM_RSRC2:USER_SGPR: 15
; COMPUTE_PGM_RSRC2:TRAP_HANDLER: 0
; COMPUTE_PGM_RSRC2:TGID_X_EN: 1
; COMPUTE_PGM_RSRC2:TGID_Y_EN: 0
; COMPUTE_PGM_RSRC2:TGID_Z_EN: 0
; COMPUTE_PGM_RSRC2:TIDIG_COMP_CNT: 0
	.section	.text._Z21sort_key_value_kernelILj512ELj2ELb1ELb0EhiEvPT3_PT4_jj,"axG",@progbits,_Z21sort_key_value_kernelILj512ELj2ELb1ELb0EhiEvPT3_PT4_jj,comdat
	.protected	_Z21sort_key_value_kernelILj512ELj2ELb1ELb0EhiEvPT3_PT4_jj ; -- Begin function _Z21sort_key_value_kernelILj512ELj2ELb1ELb0EhiEvPT3_PT4_jj
	.globl	_Z21sort_key_value_kernelILj512ELj2ELb1ELb0EhiEvPT3_PT4_jj
	.p2align	8
	.type	_Z21sort_key_value_kernelILj512ELj2ELb1ELb0EhiEvPT3_PT4_jj,@function
_Z21sort_key_value_kernelILj512ELj2ELb1ELb0EhiEvPT3_PT4_jj: ; @_Z21sort_key_value_kernelILj512ELj2ELb1ELb0EhiEvPT3_PT4_jj
; %bb.0:
	s_clause 0x1
	s_load_b128 s[4:7], s[0:1], 0x0
	s_load_b64 s[18:19], s[0:1], 0x10
	v_and_b32_e32 v8, 0x3ff, v0
	s_lshl_b32 s12, s15, 10
	s_mov_b32 s13, 0
	v_mbcnt_lo_u32_b32 v15, -1, 0
	v_bfe_u32 v21, v0, 10, 10
	v_lshlrev_b32_e32 v1, 1, v8
	v_lshlrev_b32_e32 v3, 3, v8
	v_bfe_u32 v22, v0, 20, 10
	v_lshlrev_b32_e32 v4, 1, v15
	v_and_b32_e32 v18, 15, v15
	v_add_nc_u32_e32 v17, -1, v15
	v_lshlrev_b32_e32 v16, 5, v8
	v_and_b32_e32 v20, 0x3e0, v8
	v_and_b32_e32 v24, 60, v4
	v_lshrrev_b32_e32 v19, 3, v8
	s_delay_alu instid0(VALU_DEP_2)
	v_or_b32_e32 v25, 64, v24
	s_waitcnt lgkmcnt(0)
	s_add_u32 s14, s4, s12
	s_addc_u32 s15, s5, 0
	s_lshl_b64 s[2:3], s[12:13], 2
	global_load_u16 v2, v1, s[14:15]
	s_add_u32 s16, s6, s2
	s_addc_u32 s17, s7, s3
	s_cmp_lg_u32 s18, 0
	global_load_b64 v[9:10], v3, s[16:17]
	v_and_b32_e32 v3, 1, v15
	s_cselect_b32 s6, -1, 0
	s_cmp_lg_u32 s19, 8
	v_cmp_eq_u32_e64 s3, 0, v15
	s_cselect_b32 s7, -1, 0
	v_cmp_eq_u32_e64 s2, 0, v3
	v_cmp_gt_u32_e64 s4, 16, v8
	v_cmp_lt_u32_e64 s5, 31, v8
	s_or_b32 s6, s6, s7
	s_delay_alu instid0(SALU_CYCLE_1) | instskip(SKIP_4) | instid1(VALU_DEP_2)
	s_and_b32 vcc_lo, exec_lo, s6
	s_mov_b32 s6, -1
	s_waitcnt vmcnt(1)
	v_lshrrev_b16 v0, 8, v2
	v_and_b32_e32 v27, 0xff, v2
	v_and_b32_e32 v26, 0xffff, v0
	s_cbranch_vccz .LBB32_16
; %bb.1:
	ds_bpermute_b32 v0, v24, v27
	ds_bpermute_b32 v2, v24, v26
	;; [unrolled: 1-line block ×4, first 2 shown]
	s_waitcnt vmcnt(0) lgkmcnt(0)
	s_barrier
	buffer_gl0_inv
	s_load_b32 s22, s[0:1], 0x24
	s_mov_b32 s20, s13
	s_mov_b32 s21, s13
	ds_bpermute_b32 v5, v24, v9
	ds_bpermute_b32 v6, v24, v10
	;; [unrolled: 1-line block ×4, first 2 shown]
	v_cmp_gt_i32_e32 vcc_lo, 0, v17
	v_and_or_b32 v30, 0x7c0, v1, v15
	s_mov_b32 s12, s13
	s_delay_alu instid0(SALU_CYCLE_1)
	v_dual_mov_b32 v11, s12 :: v_dual_add_nc_u32 v28, 64, v16
	v_dual_mov_b32 v12, s13 :: v_dual_and_b32 v31, 16, v15
	v_dual_mov_b32 v13, s20 :: v_dual_and_b32 v0, 0xff, v0
	v_and_b32_e32 v2, 0xff, v2
	v_lshlrev_b16 v3, 8, v3
	v_min_u32_e32 v32, 0x1e0, v20
	v_dual_mov_b32 v14, s21 :: v_dual_and_b32 v29, 0x7c, v19
	s_delay_alu instid0(VALU_DEP_4)
	v_cndmask_b32_e64 v0, v2, v0, s2
	s_waitcnt lgkmcnt(0)
	s_lshr_b32 s12, s22, 16
	v_or_b32_e32 v35, 31, v32
	v_cmp_eq_u32_e64 s6, 0, v18
	v_cmp_lt_u32_e64 s7, 1, v18
	v_or_b32_e32 v0, v0, v3
	v_cmp_lt_u32_e64 s8, 3, v18
	v_cmp_lt_u32_e64 s9, 7, v18
	v_cmp_eq_u32_e64 s10, 0, v8
	v_mad_i32_i24 v23, 0xffffffe4, v8, v16
	v_cndmask_b32_e64 v1, v2, v0, s2
	v_cndmask_b32_e32 v34, v17, v15, vcc_lo
	v_lshlrev_b16 v2, 8, v4
	v_mad_u32_u24 v4, v22, s12, v21
	s_and_b32 s12, s22, 0xffff
	v_and_b32_e32 v1, 0xff, v1
	v_cmp_eq_u32_e64 s11, 0, v31
	v_lshlrev_b32_e32 v31, 2, v34
	v_add_nc_u32_e32 v32, -4, v29
	s_sub_i32 s20, s19, s18
	v_or_b32_e32 v1, v1, v2
	v_mad_u64_u32 v[2:3], null, v4, s12, v[8:9]
	v_mul_u32_u24_e32 v3, 3, v30
	v_cmp_eq_u32_e64 s12, v35, v8
	s_delay_alu instid0(VALU_DEP_4)
	v_cndmask_b32_e64 v4, v1, v0, s2
	v_cndmask_b32_e64 v0, v6, v5, s2
	;; [unrolled: 1-line block ×3, first 2 shown]
	v_add_nc_u32_e32 v34, v30, v3
	v_lshrrev_b32_e32 v33, 5, v2
	v_and_b32_e32 v35, 0xffff, v4
	s_branch .LBB32_3
.LBB32_2:                               ;   in Loop: Header=BB32_3 Depth=1
	s_barrier
	buffer_gl0_inv
	ds_store_b8 v3, v35
	ds_store_b8 v2, v38
	s_waitcnt lgkmcnt(0)
	s_barrier
	buffer_gl0_inv
	ds_load_u8 v7, v30 offset:32
	v_mad_u64_u32 v[5:6], null, v2, 3, v[2:3]
	ds_load_u8 v6, v30
	v_mad_u64_u32 v[0:1], null, v3, 3, v[3:4]
	s_waitcnt lgkmcnt(0)
	s_barrier
	buffer_gl0_inv
	ds_store_b32 v0, v37
	ds_store_b32 v5, v36
	s_waitcnt lgkmcnt(0)
	s_barrier
	buffer_gl0_inv
	ds_load_2addr_b32 v[0:1], v34 offset1:32
	s_add_i32 s20, s20, -8
	s_waitcnt lgkmcnt(0)
	v_lshlrev_b16 v5, 8, v7
	s_barrier
	buffer_gl0_inv
	v_or_b32_e32 v5, v6, v5
	s_delay_alu instid0(VALU_DEP_1)
	v_and_b32_e32 v35, 0xffff, v5
	s_cbranch_execz .LBB32_15
.LBB32_3:                               ; =>This Inner Loop Header: Depth=1
	s_delay_alu instid0(VALU_DEP_1)
	v_and_b32_e32 v2, 0xff, v35
	s_min_u32 s13, s20, 8
	ds_store_2addr_b64 v16, v[11:12], v[13:14] offset0:8 offset1:9
	ds_store_2addr_b64 v28, v[11:12], v[13:14] offset0:2 offset1:3
	s_lshl_b32 s13, -1, s13
	s_waitcnt lgkmcnt(0)
	v_lshrrev_b32_e32 v2, s18, v2
	s_not_b32 s21, s13
	s_barrier
	buffer_gl0_inv
	v_and_b32_e32 v3, s21, v2
	; wave barrier
	s_delay_alu instid0(VALU_DEP_1)
	v_and_b32_e32 v2, 1, v3
	v_lshlrev_b32_e32 v4, 30, v3
	v_lshlrev_b32_e32 v5, 29, v3
	;; [unrolled: 1-line block ×4, first 2 shown]
	v_add_co_u32 v2, s13, v2, -1
	s_delay_alu instid0(VALU_DEP_1)
	v_cndmask_b32_e64 v7, 0, 1, s13
	v_not_b32_e32 v39, v4
	v_cmp_gt_i32_e64 s13, 0, v4
	v_not_b32_e32 v4, v5
	v_lshlrev_b32_e32 v37, 26, v3
	v_cmp_ne_u32_e32 vcc_lo, 0, v7
	v_ashrrev_i32_e32 v39, 31, v39
	s_delay_alu instid0(VALU_DEP_4)
	v_ashrrev_i32_e32 v4, 31, v4
	v_xor_b32_e32 v2, vcc_lo, v2
	v_cmp_gt_i32_e32 vcc_lo, 0, v5
	v_not_b32_e32 v5, v6
	v_xor_b32_e32 v39, s13, v39
	v_cmp_gt_i32_e64 s13, 0, v6
	v_and_b32_e32 v2, exec_lo, v2
	v_not_b32_e32 v6, v36
	v_ashrrev_i32_e32 v5, 31, v5
	v_xor_b32_e32 v4, vcc_lo, v4
	v_cmp_gt_i32_e32 vcc_lo, 0, v36
	v_and_b32_e32 v2, v2, v39
	v_not_b32_e32 v36, v37
	v_ashrrev_i32_e32 v6, 31, v6
	v_xor_b32_e32 v5, s13, v5
	v_cmp_gt_i32_e64 s13, 0, v37
	v_and_b32_e32 v2, v2, v4
	v_ashrrev_i32_e32 v36, 31, v36
	v_xor_b32_e32 v6, vcc_lo, v6
	s_delay_alu instid0(VALU_DEP_3) | instskip(NEXT) | instid1(VALU_DEP_3)
	v_dual_mov_b32 v37, v0 :: v_dual_and_b32 v2, v2, v5
	v_xor_b32_e32 v36, s13, v36
	s_delay_alu instid0(VALU_DEP_2) | instskip(NEXT) | instid1(VALU_DEP_1)
	v_and_b32_e32 v2, v2, v6
	v_and_b32_e32 v2, v2, v36
	v_mov_b32_e32 v36, v1
	v_lshlrev_b32_e32 v38, 25, v3
	v_lshlrev_b32_e32 v7, 24, v3
	v_lshl_add_u32 v0, v3, 4, v33
	s_delay_alu instid0(VALU_DEP_3) | instskip(SKIP_1) | instid1(VALU_DEP_4)
	v_not_b32_e32 v4, v38
	v_cmp_gt_i32_e32 vcc_lo, 0, v38
	v_not_b32_e32 v5, v7
	v_cmp_gt_i32_e64 s13, 0, v7
	v_lshl_add_u32 v40, v0, 2, 64
	v_ashrrev_i32_e32 v4, 31, v4
	s_delay_alu instid0(VALU_DEP_4) | instskip(NEXT) | instid1(VALU_DEP_2)
	v_ashrrev_i32_e32 v5, 31, v5
	v_xor_b32_e32 v4, vcc_lo, v4
	s_delay_alu instid0(VALU_DEP_2) | instskip(NEXT) | instid1(VALU_DEP_2)
	v_xor_b32_e32 v5, s13, v5
	v_and_b32_e32 v2, v2, v4
	s_delay_alu instid0(VALU_DEP_1) | instskip(NEXT) | instid1(VALU_DEP_1)
	v_and_b32_e32 v2, v2, v5
	v_mbcnt_lo_u32_b32 v39, v2, 0
	v_cmp_ne_u32_e64 s13, 0, v2
	s_delay_alu instid0(VALU_DEP_2) | instskip(NEXT) | instid1(VALU_DEP_2)
	v_cmp_eq_u32_e32 vcc_lo, 0, v39
	s_and_b32 s22, s13, vcc_lo
	s_delay_alu instid0(SALU_CYCLE_1)
	s_and_saveexec_b32 s13, s22
	s_cbranch_execz .LBB32_5
; %bb.4:                                ;   in Loop: Header=BB32_3 Depth=1
	v_bcnt_u32_b32 v0, v2, 0
	ds_store_b32 v40, v0
.LBB32_5:                               ;   in Loop: Header=BB32_3 Depth=1
	s_or_b32 exec_lo, exec_lo, s13
	v_lshrrev_b16 v38, 8, v35
	; wave barrier
	s_delay_alu instid0(VALU_DEP_1) | instskip(NEXT) | instid1(VALU_DEP_1)
	v_and_b32_e32 v0, 0xffff, v38
	v_lshrrev_b32_e32 v0, s18, v0
	s_delay_alu instid0(VALU_DEP_1) | instskip(NEXT) | instid1(VALU_DEP_1)
	v_and_b32_e32 v0, s21, v0
	v_and_b32_e32 v1, 1, v0
	v_lshlrev_b32_e32 v2, 30, v0
	v_lshlrev_b32_e32 v3, 29, v0
	;; [unrolled: 1-line block ×4, first 2 shown]
	v_add_co_u32 v1, s13, v1, -1
	s_delay_alu instid0(VALU_DEP_1)
	v_cndmask_b32_e64 v5, 0, 1, s13
	v_not_b32_e32 v42, v2
	v_cmp_gt_i32_e64 s13, 0, v2
	v_not_b32_e32 v2, v3
	v_lshlrev_b32_e32 v7, 26, v0
	v_cmp_ne_u32_e32 vcc_lo, 0, v5
	v_ashrrev_i32_e32 v42, 31, v42
	v_lshlrev_b32_e32 v41, 25, v0
	v_ashrrev_i32_e32 v2, 31, v2
	v_lshlrev_b32_e32 v5, 24, v0
	v_xor_b32_e32 v1, vcc_lo, v1
	v_cmp_gt_i32_e32 vcc_lo, 0, v3
	v_not_b32_e32 v3, v4
	v_xor_b32_e32 v42, s13, v42
	v_cmp_gt_i32_e64 s13, 0, v4
	v_and_b32_e32 v1, exec_lo, v1
	v_not_b32_e32 v4, v6
	v_ashrrev_i32_e32 v3, 31, v3
	v_xor_b32_e32 v2, vcc_lo, v2
	v_cmp_gt_i32_e32 vcc_lo, 0, v6
	v_and_b32_e32 v1, v1, v42
	v_not_b32_e32 v6, v7
	v_ashrrev_i32_e32 v4, 31, v4
	v_xor_b32_e32 v3, s13, v3
	v_cmp_gt_i32_e64 s13, 0, v7
	v_and_b32_e32 v1, v1, v2
	v_not_b32_e32 v2, v41
	v_ashrrev_i32_e32 v6, 31, v6
	v_xor_b32_e32 v4, vcc_lo, v4
	v_cmp_gt_i32_e32 vcc_lo, 0, v41
	v_and_b32_e32 v1, v1, v3
	v_not_b32_e32 v3, v5
	v_ashrrev_i32_e32 v2, 31, v2
	v_xor_b32_e32 v6, s13, v6
	v_lshlrev_b32_e32 v0, 4, v0
	v_and_b32_e32 v1, v1, v4
	v_cmp_gt_i32_e64 s13, 0, v5
	v_ashrrev_i32_e32 v3, 31, v3
	v_xor_b32_e32 v2, vcc_lo, v2
	v_add_lshl_u32 v4, v0, v33, 2
	v_and_b32_e32 v1, v1, v6
	s_delay_alu instid0(VALU_DEP_4) | instskip(SKIP_3) | instid1(VALU_DEP_2)
	v_xor_b32_e32 v0, s13, v3
	ds_load_b32 v41, v4 offset:64
	v_and_b32_e32 v1, v1, v2
	v_add_nc_u32_e32 v43, 64, v4
	; wave barrier
	v_and_b32_e32 v0, v1, v0
	s_delay_alu instid0(VALU_DEP_1) | instskip(SKIP_1) | instid1(VALU_DEP_2)
	v_mbcnt_lo_u32_b32 v42, v0, 0
	v_cmp_ne_u32_e64 s13, 0, v0
	v_cmp_eq_u32_e32 vcc_lo, 0, v42
	s_delay_alu instid0(VALU_DEP_2) | instskip(NEXT) | instid1(SALU_CYCLE_1)
	s_and_b32 s21, s13, vcc_lo
	s_and_saveexec_b32 s13, s21
	s_cbranch_execz .LBB32_7
; %bb.6:                                ;   in Loop: Header=BB32_3 Depth=1
	s_waitcnt lgkmcnt(0)
	v_bcnt_u32_b32 v0, v0, v41
	ds_store_b32 v43, v0
.LBB32_7:                               ;   in Loop: Header=BB32_3 Depth=1
	s_or_b32 exec_lo, exec_lo, s13
	; wave barrier
	s_waitcnt lgkmcnt(0)
	s_barrier
	buffer_gl0_inv
	ds_load_2addr_b64 v[4:7], v16 offset0:8 offset1:9
	ds_load_2addr_b64 v[0:3], v28 offset0:2 offset1:3
	s_waitcnt lgkmcnt(1)
	v_add_nc_u32_e32 v44, v5, v4
	s_delay_alu instid0(VALU_DEP_1) | instskip(SKIP_1) | instid1(VALU_DEP_1)
	v_add3_u32 v44, v44, v6, v7
	s_waitcnt lgkmcnt(0)
	v_add3_u32 v44, v44, v0, v1
	s_delay_alu instid0(VALU_DEP_1) | instskip(NEXT) | instid1(VALU_DEP_1)
	v_add3_u32 v3, v44, v2, v3
	v_mov_b32_dpp v44, v3 row_shr:1 row_mask:0xf bank_mask:0xf
	s_delay_alu instid0(VALU_DEP_1) | instskip(NEXT) | instid1(VALU_DEP_1)
	v_cndmask_b32_e64 v44, v44, 0, s6
	v_add_nc_u32_e32 v3, v44, v3
	s_delay_alu instid0(VALU_DEP_1) | instskip(NEXT) | instid1(VALU_DEP_1)
	v_mov_b32_dpp v44, v3 row_shr:2 row_mask:0xf bank_mask:0xf
	v_cndmask_b32_e64 v44, 0, v44, s7
	s_delay_alu instid0(VALU_DEP_1) | instskip(NEXT) | instid1(VALU_DEP_1)
	v_add_nc_u32_e32 v3, v3, v44
	v_mov_b32_dpp v44, v3 row_shr:4 row_mask:0xf bank_mask:0xf
	s_delay_alu instid0(VALU_DEP_1) | instskip(NEXT) | instid1(VALU_DEP_1)
	v_cndmask_b32_e64 v44, 0, v44, s8
	v_add_nc_u32_e32 v3, v3, v44
	s_delay_alu instid0(VALU_DEP_1) | instskip(NEXT) | instid1(VALU_DEP_1)
	v_mov_b32_dpp v44, v3 row_shr:8 row_mask:0xf bank_mask:0xf
	v_cndmask_b32_e64 v44, 0, v44, s9
	s_delay_alu instid0(VALU_DEP_1) | instskip(SKIP_3) | instid1(VALU_DEP_1)
	v_add_nc_u32_e32 v3, v3, v44
	ds_swizzle_b32 v44, v3 offset:swizzle(BROADCAST,32,15)
	s_waitcnt lgkmcnt(0)
	v_cndmask_b32_e64 v44, v44, 0, s11
	v_add_nc_u32_e32 v3, v3, v44
	s_and_saveexec_b32 s13, s12
	s_cbranch_execz .LBB32_9
; %bb.8:                                ;   in Loop: Header=BB32_3 Depth=1
	ds_store_b32 v29, v3
.LBB32_9:                               ;   in Loop: Header=BB32_3 Depth=1
	s_or_b32 exec_lo, exec_lo, s13
	s_waitcnt lgkmcnt(0)
	s_barrier
	buffer_gl0_inv
	s_and_saveexec_b32 s13, s4
	s_cbranch_execz .LBB32_11
; %bb.10:                               ;   in Loop: Header=BB32_3 Depth=1
	ds_load_b32 v44, v23
	s_waitcnt lgkmcnt(0)
	v_mov_b32_dpp v45, v44 row_shr:1 row_mask:0xf bank_mask:0xf
	s_delay_alu instid0(VALU_DEP_1) | instskip(NEXT) | instid1(VALU_DEP_1)
	v_cndmask_b32_e64 v45, v45, 0, s6
	v_add_nc_u32_e32 v44, v45, v44
	s_delay_alu instid0(VALU_DEP_1) | instskip(NEXT) | instid1(VALU_DEP_1)
	v_mov_b32_dpp v45, v44 row_shr:2 row_mask:0xf bank_mask:0xf
	v_cndmask_b32_e64 v45, 0, v45, s7
	s_delay_alu instid0(VALU_DEP_1) | instskip(NEXT) | instid1(VALU_DEP_1)
	v_add_nc_u32_e32 v44, v44, v45
	v_mov_b32_dpp v45, v44 row_shr:4 row_mask:0xf bank_mask:0xf
	s_delay_alu instid0(VALU_DEP_1) | instskip(NEXT) | instid1(VALU_DEP_1)
	v_cndmask_b32_e64 v45, 0, v45, s8
	v_add_nc_u32_e32 v44, v44, v45
	s_delay_alu instid0(VALU_DEP_1) | instskip(NEXT) | instid1(VALU_DEP_1)
	v_mov_b32_dpp v45, v44 row_shr:8 row_mask:0xf bank_mask:0xf
	v_cndmask_b32_e64 v45, 0, v45, s9
	s_delay_alu instid0(VALU_DEP_1)
	v_add_nc_u32_e32 v44, v44, v45
	ds_store_b32 v23, v44
.LBB32_11:                              ;   in Loop: Header=BB32_3 Depth=1
	s_or_b32 exec_lo, exec_lo, s13
	v_mov_b32_e32 v44, 0
	s_waitcnt lgkmcnt(0)
	s_barrier
	buffer_gl0_inv
	s_and_saveexec_b32 s13, s5
	s_cbranch_execz .LBB32_13
; %bb.12:                               ;   in Loop: Header=BB32_3 Depth=1
	ds_load_b32 v44, v32
.LBB32_13:                              ;   in Loop: Header=BB32_3 Depth=1
	s_or_b32 exec_lo, exec_lo, s13
	s_waitcnt lgkmcnt(0)
	v_add_nc_u32_e32 v3, v44, v3
	s_add_i32 s18, s18, 8
	s_delay_alu instid0(SALU_CYCLE_1) | instskip(SKIP_3) | instid1(VALU_DEP_1)
	s_cmp_ge_u32 s18, s19
	ds_bpermute_b32 v3, v31, v3
	s_waitcnt lgkmcnt(0)
	v_cndmask_b32_e64 v3, v3, v44, s3
	v_cndmask_b32_e64 v3, v3, 0, s10
	s_delay_alu instid0(VALU_DEP_1) | instskip(NEXT) | instid1(VALU_DEP_1)
	v_add_nc_u32_e32 v4, v3, v4
	v_add_nc_u32_e32 v5, v4, v5
	s_delay_alu instid0(VALU_DEP_1) | instskip(NEXT) | instid1(VALU_DEP_1)
	v_add_nc_u32_e32 v6, v5, v6
	v_add_nc_u32_e32 v44, v6, v7
	;; [unrolled: 3-line block ×3, first 2 shown]
	s_delay_alu instid0(VALU_DEP_1)
	v_add_nc_u32_e32 v1, v0, v2
	ds_store_2addr_b64 v16, v[3:4], v[5:6] offset0:8 offset1:9
	ds_store_2addr_b64 v28, v[44:45], v[0:1] offset0:2 offset1:3
	v_mov_b32_e32 v4, v35
	s_waitcnt lgkmcnt(0)
	s_barrier
	buffer_gl0_inv
	ds_load_b32 v0, v40
	ds_load_b32 v1, v43
	s_waitcnt lgkmcnt(0)
	v_add_nc_u32_e32 v3, v0, v39
	v_add3_u32 v2, v42, v41, v1
	s_cbranch_scc0 .LBB32_2
; %bb.14:
                                        ; implicit-def: $vgpr1
                                        ; implicit-def: $vgpr35
                                        ; implicit-def: $sgpr20
.LBB32_15:
	s_barrier
	buffer_gl0_inv
	ds_store_b8 v3, v4
	ds_store_b8 v2, v38
	s_waitcnt lgkmcnt(0)
	s_barrier
	buffer_gl0_inv
	ds_load_u8 v0, v8 offset:512
	ds_load_u8 v1, v8
	v_mad_u64_u32 v[4:5], null, v3, 3, v[3:4]
	v_mad_u64_u32 v[5:6], null, v2, 3, v[2:3]
	s_waitcnt lgkmcnt(0)
	s_barrier
	buffer_gl0_inv
	ds_store_b32 v4, v37
	ds_store_b32 v5, v36
	s_waitcnt lgkmcnt(0)
	s_barrier
	v_lshlrev_b16 v0, 8, v0
	s_delay_alu instid0(VALU_DEP_1) | instskip(SKIP_1) | instid1(VALU_DEP_2)
	v_or_b32_e32 v1, v1, v0
	v_add_nc_u32_e32 v0, 0x200, v8
	v_and_b32_e32 v1, 0xffff, v1
	s_branch .LBB32_28
.LBB32_16:
                                        ; implicit-def: $vgpr0
                                        ; implicit-def: $vgpr23
                                        ; implicit-def: $vgpr1
	s_and_b32 vcc_lo, exec_lo, s6
	s_cbranch_vccz .LBB32_28
; %bb.17:
	ds_bpermute_b32 v0, v24, v27
	ds_bpermute_b32 v1, v24, v26
	;; [unrolled: 1-line block ×3, first 2 shown]
	s_mov_b32 s4, 0
	ds_bpermute_b32 v3, v25, v26
	s_mov_b32 s5, s4
	s_mov_b32 s6, s4
	s_mov_b32 s7, s4
	s_waitcnt vmcnt(0) lgkmcnt(0)
	s_barrier
	buffer_gl0_inv
	s_load_b32 s1, s[0:1], 0x24
	ds_bpermute_b32 v11, v24, v9
	ds_bpermute_b32 v9, v25, v9
	;; [unrolled: 1-line block ×4, first 2 shown]
	v_and_b32_e32 v0, 0xff, v0
	v_and_b32_e32 v1, 0xff, v1
	v_lshlrev_b16 v2, 8, v2
	s_delay_alu instid0(VALU_DEP_2) | instskip(SKIP_2) | instid1(VALU_DEP_1)
	v_cndmask_b32_e64 v0, v1, v0, s2
	s_waitcnt lgkmcnt(0)
	s_lshr_b32 s3, s1, 16
	v_or_b32_e32 v0, v0, v2
	v_lshlrev_b16 v2, 8, v3
	s_delay_alu instid0(VALU_DEP_2) | instskip(NEXT) | instid1(VALU_DEP_1)
	v_cndmask_b32_e64 v1, v1, v0, s2
	v_and_b32_e32 v1, 0xff, v1
	s_delay_alu instid0(VALU_DEP_1) | instskip(NEXT) | instid1(VALU_DEP_1)
	v_or_b32_e32 v1, v1, v2
	v_cndmask_b32_e64 v13, v1, v0, s2
	s_delay_alu instid0(VALU_DEP_1)
	v_and_b32_e32 v0, 1, v13
	v_lshlrev_b32_e32 v1, 30, v13
	v_lshlrev_b32_e32 v2, 29, v13
	;; [unrolled: 1-line block ×4, first 2 shown]
	v_add_co_u32 v0, s0, v0, -1
	s_delay_alu instid0(VALU_DEP_1)
	v_cndmask_b32_e64 v4, 0, 1, s0
	v_not_b32_e32 v14, v1
	v_cmp_gt_i32_e64 s0, 0, v1
	v_not_b32_e32 v1, v2
	v_lshlrev_b32_e32 v6, 26, v13
	v_cmp_ne_u32_e32 vcc_lo, 0, v4
	v_ashrrev_i32_e32 v14, 31, v14
	v_lshlrev_b32_e32 v7, 25, v13
	v_ashrrev_i32_e32 v1, 31, v1
	v_lshlrev_b32_e32 v4, 24, v13
	v_xor_b32_e32 v0, vcc_lo, v0
	v_cmp_gt_i32_e32 vcc_lo, 0, v2
	v_not_b32_e32 v2, v3
	v_xor_b32_e32 v14, s0, v14
	v_cmp_gt_i32_e64 s0, 0, v3
	v_and_b32_e32 v0, exec_lo, v0
	v_not_b32_e32 v3, v5
	v_ashrrev_i32_e32 v2, 31, v2
	v_xor_b32_e32 v1, vcc_lo, v1
	v_cmp_gt_i32_e32 vcc_lo, 0, v5
	v_and_b32_e32 v0, v0, v14
	v_not_b32_e32 v5, v6
	v_ashrrev_i32_e32 v3, 31, v3
	v_xor_b32_e32 v2, s0, v2
	v_cmp_gt_i32_e64 s0, 0, v6
	v_and_b32_e32 v0, v0, v1
	v_not_b32_e32 v1, v7
	v_ashrrev_i32_e32 v5, 31, v5
	v_xor_b32_e32 v3, vcc_lo, v3
	v_cmp_gt_i32_e32 vcc_lo, 0, v7
	v_and_b32_e32 v0, v0, v2
	v_not_b32_e32 v2, v4
	v_ashrrev_i32_e32 v1, 31, v1
	v_xor_b32_e32 v5, s0, v5
	v_cmp_gt_i32_e64 s0, 0, v4
	v_and_b32_e32 v0, v0, v3
	v_ashrrev_i32_e32 v4, 31, v2
	v_xor_b32_e32 v1, vcc_lo, v1
	v_mad_u32_u24 v6, v22, s3, v21
	v_mov_b32_e32 v2, s4
	v_and_b32_e32 v0, v0, v5
	v_xor_b32_e32 v7, s0, v4
	s_and_b32 s0, s1, 0xffff
	v_dual_mov_b32 v4, s6 :: v_dual_mov_b32 v5, s7
	s_delay_alu instid0(VALU_DEP_3) | instskip(SKIP_2) | instid1(VALU_DEP_3)
	v_and_b32_e32 v14, v0, v1
	v_mad_u64_u32 v[0:1], null, v6, s0, v[8:9]
	v_dual_mov_b32 v3, s5 :: v_dual_and_b32 v6, 0xff, v13
	v_and_b32_e32 v1, v14, v7
	ds_store_2addr_b64 v16, v[2:3], v[4:5] offset0:8 offset1:9
	ds_store_2addr_b64 v16, v[2:3], v[4:5] offset0:10 offset1:11
	v_lshrrev_b32_e32 v0, 5, v0
	v_mbcnt_lo_u32_b32 v14, v1, 0
	v_lshlrev_b32_e32 v3, 4, v6
	v_cmp_ne_u32_e64 s0, 0, v1
	v_and_b32_e32 v2, 0xffff, v13
	s_waitcnt lgkmcnt(0)
	v_cmp_eq_u32_e32 vcc_lo, 0, v14
	v_add_lshl_u32 v21, v0, v3, 2
	s_barrier
	buffer_gl0_inv
	s_and_b32 s1, s0, vcc_lo
	; wave barrier
	s_delay_alu instid0(SALU_CYCLE_1)
	s_and_saveexec_b32 s0, s1
	s_cbranch_execz .LBB32_19
; %bb.18:
	v_bcnt_u32_b32 v1, v1, 0
	ds_store_b32 v21, v1 offset:64
.LBB32_19:
	s_or_b32 exec_lo, exec_lo, s0
	v_lshrrev_b16 v22, 8, v2
	; wave barrier
	v_add_nc_u32_e32 v27, 64, v16
	v_min_u32_e32 v20, 0x1e0, v20
	s_delay_alu instid0(VALU_DEP_3) | instskip(NEXT) | instid1(VALU_DEP_1)
	v_and_b32_e32 v1, 0xffff, v22
	v_and_b32_e32 v2, 1, v1
	v_lshlrev_b32_e32 v3, 30, v1
	v_lshlrev_b32_e32 v4, 29, v1
	v_lshlrev_b32_e32 v5, 28, v1
	v_lshlrev_b32_e32 v7, 27, v1
	v_add_co_u32 v2, s0, v2, -1
	s_delay_alu instid0(VALU_DEP_1)
	v_cndmask_b32_e64 v6, 0, 1, s0
	v_not_b32_e32 v25, v3
	v_cmp_gt_i32_e64 s0, 0, v3
	v_not_b32_e32 v3, v4
	v_lshlrev_b32_e32 v23, 26, v1
	v_cmp_ne_u32_e32 vcc_lo, 0, v6
	v_ashrrev_i32_e32 v25, 31, v25
	v_lshlrev_b32_e32 v24, 25, v1
	v_ashrrev_i32_e32 v3, 31, v3
	v_lshlrev_b32_e32 v6, 24, v1
	v_xor_b32_e32 v2, vcc_lo, v2
	v_cmp_gt_i32_e32 vcc_lo, 0, v4
	v_not_b32_e32 v4, v5
	v_xor_b32_e32 v25, s0, v25
	v_cmp_gt_i32_e64 s0, 0, v5
	v_and_b32_e32 v2, exec_lo, v2
	v_not_b32_e32 v5, v7
	v_ashrrev_i32_e32 v4, 31, v4
	v_xor_b32_e32 v3, vcc_lo, v3
	v_cmp_gt_i32_e32 vcc_lo, 0, v7
	v_and_b32_e32 v2, v2, v25
	v_not_b32_e32 v7, v23
	v_ashrrev_i32_e32 v5, 31, v5
	v_xor_b32_e32 v4, s0, v4
	v_cmp_gt_i32_e64 s0, 0, v23
	v_and_b32_e32 v2, v2, v3
	v_not_b32_e32 v3, v24
	v_ashrrev_i32_e32 v7, 31, v7
	v_xor_b32_e32 v5, vcc_lo, v5
	v_cmp_gt_i32_e32 vcc_lo, 0, v24
	v_and_b32_e32 v2, v2, v4
	v_not_b32_e32 v4, v6
	v_ashrrev_i32_e32 v3, 31, v3
	v_xor_b32_e32 v7, s0, v7
	v_lshlrev_b32_e32 v1, 4, v1
	v_and_b32_e32 v2, v2, v5
	v_cmp_gt_i32_e64 s0, 0, v6
	v_ashrrev_i32_e32 v4, 31, v4
	v_xor_b32_e32 v3, vcc_lo, v3
	v_add_lshl_u32 v24, v0, v1, 2
	v_and_b32_e32 v2, v2, v7
	s_delay_alu instid0(VALU_DEP_4) | instskip(SKIP_2) | instid1(VALU_DEP_1)
	v_xor_b32_e32 v0, s0, v4
	ds_load_b32 v25, v24 offset:64
	v_and_b32_e32 v1, v2, v3
	; wave barrier
	v_and_b32_e32 v0, v1, v0
	s_delay_alu instid0(VALU_DEP_1) | instskip(SKIP_1) | instid1(VALU_DEP_2)
	v_mbcnt_lo_u32_b32 v26, v0, 0
	v_cmp_ne_u32_e64 s0, 0, v0
	v_cmp_eq_u32_e32 vcc_lo, 0, v26
	s_delay_alu instid0(VALU_DEP_2) | instskip(NEXT) | instid1(SALU_CYCLE_1)
	s_and_b32 s1, s0, vcc_lo
	s_and_saveexec_b32 s0, s1
	s_cbranch_execz .LBB32_21
; %bb.20:
	s_waitcnt lgkmcnt(0)
	v_bcnt_u32_b32 v0, v0, v25
	ds_store_b32 v24, v0 offset:64
.LBB32_21:
	s_or_b32 exec_lo, exec_lo, s0
	; wave barrier
	s_waitcnt lgkmcnt(0)
	s_barrier
	buffer_gl0_inv
	ds_load_2addr_b64 v[4:7], v16 offset0:8 offset1:9
	ds_load_2addr_b64 v[0:3], v27 offset0:2 offset1:3
	v_cmp_eq_u32_e32 vcc_lo, 0, v18
	v_cmp_lt_u32_e64 s0, 1, v18
	v_cmp_lt_u32_e64 s1, 3, v18
	;; [unrolled: 1-line block ×3, first 2 shown]
	v_or_b32_e32 v28, 31, v20
	v_mul_i32_i24_e32 v20, 0xffffffe4, v8
	s_mov_b32 s5, exec_lo
	s_waitcnt lgkmcnt(1)
	v_add_nc_u32_e32 v23, v5, v4
	s_delay_alu instid0(VALU_DEP_1) | instskip(SKIP_1) | instid1(VALU_DEP_1)
	v_add3_u32 v23, v23, v6, v7
	s_waitcnt lgkmcnt(0)
	v_add3_u32 v23, v23, v0, v1
	s_delay_alu instid0(VALU_DEP_1) | instskip(NEXT) | instid1(VALU_DEP_1)
	v_add3_u32 v3, v23, v2, v3
	v_mov_b32_dpp v23, v3 row_shr:1 row_mask:0xf bank_mask:0xf
	s_delay_alu instid0(VALU_DEP_1) | instskip(NEXT) | instid1(VALU_DEP_1)
	v_cndmask_b32_e64 v23, v23, 0, vcc_lo
	v_add_nc_u32_e32 v3, v23, v3
	s_delay_alu instid0(VALU_DEP_1) | instskip(NEXT) | instid1(VALU_DEP_1)
	v_mov_b32_dpp v23, v3 row_shr:2 row_mask:0xf bank_mask:0xf
	v_cndmask_b32_e64 v23, 0, v23, s0
	s_delay_alu instid0(VALU_DEP_1) | instskip(NEXT) | instid1(VALU_DEP_1)
	v_add_nc_u32_e32 v3, v3, v23
	v_mov_b32_dpp v23, v3 row_shr:4 row_mask:0xf bank_mask:0xf
	s_delay_alu instid0(VALU_DEP_1) | instskip(NEXT) | instid1(VALU_DEP_1)
	v_cndmask_b32_e64 v23, 0, v23, s1
	v_add_nc_u32_e32 v3, v3, v23
	s_delay_alu instid0(VALU_DEP_1) | instskip(NEXT) | instid1(VALU_DEP_1)
	v_mov_b32_dpp v23, v3 row_shr:8 row_mask:0xf bank_mask:0xf
	v_cndmask_b32_e64 v18, 0, v23, s3
	v_bfe_i32 v23, v15, 4, 1
	s_delay_alu instid0(VALU_DEP_2) | instskip(SKIP_4) | instid1(VALU_DEP_2)
	v_add_nc_u32_e32 v3, v3, v18
	ds_swizzle_b32 v18, v3 offset:swizzle(BROADCAST,32,15)
	s_waitcnt lgkmcnt(0)
	v_and_b32_e32 v23, v23, v18
	v_and_b32_e32 v18, 0x7c, v19
	v_add_nc_u32_e32 v3, v3, v23
	v_cmpx_eq_u32_e64 v28, v8
	s_cbranch_execz .LBB32_23
; %bb.22:
	ds_store_b32 v18, v3
.LBB32_23:
	s_or_b32 exec_lo, exec_lo, s5
	v_add_nc_u32_e32 v23, v16, v20
	s_mov_b32 s5, exec_lo
	s_waitcnt lgkmcnt(0)
	s_barrier
	buffer_gl0_inv
	v_cmpx_gt_u32_e32 16, v8
	s_cbranch_execz .LBB32_25
; %bb.24:
	ds_load_b32 v19, v23
	s_waitcnt lgkmcnt(0)
	v_mov_b32_dpp v20, v19 row_shr:1 row_mask:0xf bank_mask:0xf
	s_delay_alu instid0(VALU_DEP_1) | instskip(NEXT) | instid1(VALU_DEP_1)
	v_cndmask_b32_e64 v20, v20, 0, vcc_lo
	v_add_nc_u32_e32 v19, v20, v19
	s_delay_alu instid0(VALU_DEP_1) | instskip(NEXT) | instid1(VALU_DEP_1)
	v_mov_b32_dpp v20, v19 row_shr:2 row_mask:0xf bank_mask:0xf
	v_cndmask_b32_e64 v20, 0, v20, s0
	s_delay_alu instid0(VALU_DEP_1) | instskip(NEXT) | instid1(VALU_DEP_1)
	v_add_nc_u32_e32 v19, v19, v20
	v_mov_b32_dpp v20, v19 row_shr:4 row_mask:0xf bank_mask:0xf
	s_delay_alu instid0(VALU_DEP_1) | instskip(NEXT) | instid1(VALU_DEP_1)
	v_cndmask_b32_e64 v20, 0, v20, s1
	v_add_nc_u32_e32 v19, v19, v20
	s_delay_alu instid0(VALU_DEP_1) | instskip(NEXT) | instid1(VALU_DEP_1)
	v_mov_b32_dpp v20, v19 row_shr:8 row_mask:0xf bank_mask:0xf
	v_cndmask_b32_e64 v20, 0, v20, s3
	s_delay_alu instid0(VALU_DEP_1)
	v_add_nc_u32_e32 v19, v19, v20
	ds_store_b32 v23, v19
.LBB32_25:
	s_or_b32 exec_lo, exec_lo, s5
	v_mov_b32_e32 v19, 0
	s_mov_b32 s0, exec_lo
	s_waitcnt lgkmcnt(0)
	s_barrier
	buffer_gl0_inv
	v_cmpx_lt_u32_e32 31, v8
	s_cbranch_execz .LBB32_27
; %bb.26:
	v_add_nc_u32_e32 v18, -4, v18
	ds_load_b32 v19, v18
.LBB32_27:
	s_or_b32 exec_lo, exec_lo, s0
	v_cmp_gt_i32_e32 vcc_lo, 0, v17
	s_waitcnt lgkmcnt(0)
	v_add_nc_u32_e32 v3, v19, v3
	v_cndmask_b32_e32 v17, v17, v15, vcc_lo
	v_cmp_eq_u32_e32 vcc_lo, 0, v15
	s_delay_alu instid0(VALU_DEP_2) | instskip(SKIP_4) | instid1(VALU_DEP_2)
	v_lshlrev_b32_e32 v17, 2, v17
	ds_bpermute_b32 v3, v17, v3
	s_waitcnt lgkmcnt(0)
	v_cndmask_b32_e32 v3, v3, v19, vcc_lo
	v_cmp_ne_u32_e32 vcc_lo, 0, v8
	v_cndmask_b32_e32 v3, 0, v3, vcc_lo
	s_delay_alu instid0(VALU_DEP_1) | instskip(NEXT) | instid1(VALU_DEP_1)
	v_add_nc_u32_e32 v4, v3, v4
	v_add_nc_u32_e32 v5, v4, v5
	s_delay_alu instid0(VALU_DEP_1) | instskip(NEXT) | instid1(VALU_DEP_1)
	v_add_nc_u32_e32 v6, v5, v6
	v_add_nc_u32_e32 v17, v6, v7
	;; [unrolled: 3-line block ×3, first 2 shown]
	s_delay_alu instid0(VALU_DEP_1)
	v_add_nc_u32_e32 v1, v0, v2
	ds_store_2addr_b64 v16, v[3:4], v[5:6] offset0:8 offset1:9
	ds_store_2addr_b64 v27, v[17:18], v[0:1] offset0:2 offset1:3
	s_waitcnt lgkmcnt(0)
	s_barrier
	buffer_gl0_inv
	ds_load_b32 v0, v21 offset:64
	ds_load_b32 v1, v24 offset:64
	s_waitcnt lgkmcnt(0)
	s_barrier
	buffer_gl0_inv
	v_cndmask_b32_e64 v6, v12, v11, s2
	v_cndmask_b32_e64 v5, v10, v9, s2
	v_add_nc_u32_e32 v2, v0, v14
	v_add3_u32 v1, v26, v25, v1
	ds_store_b8 v2, v13
	ds_store_b8 v1, v22
	s_waitcnt lgkmcnt(0)
	s_barrier
	buffer_gl0_inv
	ds_load_u8 v0, v8 offset:512
	ds_load_u8 v3, v8
	v_lshlrev_b32_e32 v2, 2, v2
	s_waitcnt lgkmcnt(0)
	s_barrier
	buffer_gl0_inv
	v_lshlrev_b16 v4, 8, v0
	v_add_nc_u32_e32 v0, 0x200, v8
	s_delay_alu instid0(VALU_DEP_2)
	v_or_b32_e32 v3, v3, v4
	v_lshlrev_b32_e32 v4, 2, v1
	ds_store_b32 v2, v6
	ds_store_b32 v4, v5
	v_and_b32_e32 v1, 0xffff, v3
	s_waitcnt lgkmcnt(0)
	s_barrier
.LBB32_28:
	s_delay_alu instid0(VALU_DEP_2)
	v_lshlrev_b32_e32 v0, 2, v0
	s_waitcnt vmcnt(0)
	buffer_gl0_inv
	v_lshrrev_b16 v3, 8, v1
	v_lshlrev_b32_e32 v4, 2, v8
	ds_load_b32 v2, v23
	ds_load_b32 v0, v0
	s_clause 0x1
	global_store_b8 v8, v1, s[14:15]
	global_store_b8 v8, v3, s[14:15] offset:512
	s_waitcnt lgkmcnt(1)
	global_store_b32 v4, v2, s[16:17]
	s_waitcnt lgkmcnt(0)
	global_store_b32 v4, v0, s[16:17] offset:2048
	s_nop 0
	s_sendmsg sendmsg(MSG_DEALLOC_VGPRS)
	s_endpgm
	.section	.rodata,"a",@progbits
	.p2align	6, 0x0
	.amdhsa_kernel _Z21sort_key_value_kernelILj512ELj2ELb1ELb0EhiEvPT3_PT4_jj
		.amdhsa_group_segment_fixed_size 16448
		.amdhsa_private_segment_fixed_size 0
		.amdhsa_kernarg_size 280
		.amdhsa_user_sgpr_count 15
		.amdhsa_user_sgpr_dispatch_ptr 0
		.amdhsa_user_sgpr_queue_ptr 0
		.amdhsa_user_sgpr_kernarg_segment_ptr 1
		.amdhsa_user_sgpr_dispatch_id 0
		.amdhsa_user_sgpr_private_segment_size 0
		.amdhsa_wavefront_size32 1
		.amdhsa_uses_dynamic_stack 0
		.amdhsa_enable_private_segment 0
		.amdhsa_system_sgpr_workgroup_id_x 1
		.amdhsa_system_sgpr_workgroup_id_y 0
		.amdhsa_system_sgpr_workgroup_id_z 0
		.amdhsa_system_sgpr_workgroup_info 0
		.amdhsa_system_vgpr_workitem_id 2
		.amdhsa_next_free_vgpr 46
		.amdhsa_next_free_sgpr 23
		.amdhsa_reserve_vcc 1
		.amdhsa_float_round_mode_32 0
		.amdhsa_float_round_mode_16_64 0
		.amdhsa_float_denorm_mode_32 3
		.amdhsa_float_denorm_mode_16_64 3
		.amdhsa_dx10_clamp 1
		.amdhsa_ieee_mode 1
		.amdhsa_fp16_overflow 0
		.amdhsa_workgroup_processor_mode 1
		.amdhsa_memory_ordered 1
		.amdhsa_forward_progress 0
		.amdhsa_shared_vgpr_count 0
		.amdhsa_exception_fp_ieee_invalid_op 0
		.amdhsa_exception_fp_denorm_src 0
		.amdhsa_exception_fp_ieee_div_zero 0
		.amdhsa_exception_fp_ieee_overflow 0
		.amdhsa_exception_fp_ieee_underflow 0
		.amdhsa_exception_fp_ieee_inexact 0
		.amdhsa_exception_int_div_zero 0
	.end_amdhsa_kernel
	.section	.text._Z21sort_key_value_kernelILj512ELj2ELb1ELb0EhiEvPT3_PT4_jj,"axG",@progbits,_Z21sort_key_value_kernelILj512ELj2ELb1ELb0EhiEvPT3_PT4_jj,comdat
.Lfunc_end32:
	.size	_Z21sort_key_value_kernelILj512ELj2ELb1ELb0EhiEvPT3_PT4_jj, .Lfunc_end32-_Z21sort_key_value_kernelILj512ELj2ELb1ELb0EhiEvPT3_PT4_jj
                                        ; -- End function
	.section	.AMDGPU.csdata,"",@progbits
; Kernel info:
; codeLenInByte = 4148
; NumSgprs: 25
; NumVgprs: 46
; ScratchSize: 0
; MemoryBound: 0
; FloatMode: 240
; IeeeMode: 1
; LDSByteSize: 16448 bytes/workgroup (compile time only)
; SGPRBlocks: 3
; VGPRBlocks: 5
; NumSGPRsForWavesPerEU: 25
; NumVGPRsForWavesPerEU: 46
; Occupancy: 16
; WaveLimiterHint : 1
; COMPUTE_PGM_RSRC2:SCRATCH_EN: 0
; COMPUTE_PGM_RSRC2:USER_SGPR: 15
; COMPUTE_PGM_RSRC2:TRAP_HANDLER: 0
; COMPUTE_PGM_RSRC2:TGID_X_EN: 1
; COMPUTE_PGM_RSRC2:TGID_Y_EN: 0
; COMPUTE_PGM_RSRC2:TGID_Z_EN: 0
; COMPUTE_PGM_RSRC2:TIDIG_COMP_CNT: 2
	.section	.text._Z21sort_key_value_kernelILj162ELj2ELb1ELb1EjsEvPT3_PT4_jj,"axG",@progbits,_Z21sort_key_value_kernelILj162ELj2ELb1ELb1EjsEvPT3_PT4_jj,comdat
	.protected	_Z21sort_key_value_kernelILj162ELj2ELb1ELb1EjsEvPT3_PT4_jj ; -- Begin function _Z21sort_key_value_kernelILj162ELj2ELb1ELb1EjsEvPT3_PT4_jj
	.globl	_Z21sort_key_value_kernelILj162ELj2ELb1ELb1EjsEvPT3_PT4_jj
	.p2align	8
	.type	_Z21sort_key_value_kernelILj162ELj2ELb1ELb1EjsEvPT3_PT4_jj,@function
_Z21sort_key_value_kernelILj162ELj2ELb1ELb1EjsEvPT3_PT4_jj: ; @_Z21sort_key_value_kernelILj162ELj2ELb1ELb1EjsEvPT3_PT4_jj
; %bb.0:
	s_clause 0x1
	s_load_b128 s[4:7], s[0:1], 0x0
	s_load_b64 s[22:23], s[0:1], 0x10
	s_mov_b32 s3, 0
	s_mul_i32 s2, s15, 0x144
	v_lshlrev_b32_e32 v1, 3, v0
	s_lshl_b64 s[8:9], s[2:3], 2
	v_lshlrev_b32_e32 v11, 2, v0
	v_mbcnt_lo_u32_b32 v3, -1, 0
	v_and_b32_e32 v6, 0xe0, v0
	v_lshrrev_b32_e32 v8, 3, v0
	v_cmp_gt_u32_e64 s12, 0x3cc, v0
	v_cmp_gt_u32_e64 s13, 0x32a, v0
	v_add_nc_u32_e32 v7, -1, v3
	v_and_b32_e32 v4, 15, v3
	v_and_b32_e32 v5, 16, v3
	;; [unrolled: 1-line block ×3, first 2 shown]
	v_cmp_gt_u32_e64 s14, 0x288, v0
	v_cmp_gt_i32_e32 vcc_lo, 0, v7
	v_lshlrev_b32_e32 v12, 5, v0
	v_cmp_gt_u32_e64 s15, 0x1e6, v0
	s_waitcnt lgkmcnt(0)
	s_add_u32 s18, s4, s8
	s_addc_u32 s19, s5, s9
	s_lshl_b64 s[0:1], s[2:3], 1
	global_load_b64 v[1:2], v1, s[18:19]
	s_add_u32 s20, s6, s0
	s_addc_u32 s21, s7, s1
	v_cmp_eq_u32_e64 s2, 0, v3
	v_cndmask_b32_e32 v3, v7, v3, vcc_lo
	global_load_b32 v18, v11, s[20:21]
	v_cmp_eq_u32_e64 s3, 0, v4
	v_cmp_lt_u32_e64 s4, 1, v4
	v_cmp_lt_u32_e64 s5, 3, v4
	;; [unrolled: 1-line block ×3, first 2 shown]
	v_min_u32_e32 v4, 0x82, v6
	v_mad_i32_i24 v14, 0xffffffe4, v0, v12
	s_cmp_eq_u32 s22, 0
	v_cmp_eq_u32_e64 s7, 0, v5
	s_cselect_b32 s17, -1, 0
	s_cmp_eq_u32 s23, 32
	v_sub_nc_u32_e32 v5, 0, v11
	v_add_nc_u32_e32 v4, 31, v4
	v_add_nc_u32_e32 v15, v14, v11
	s_cselect_b32 s24, -1, 0
	v_cmp_gt_u32_e64 s0, 6, v0
	s_and_b32 s17, s17, s24
	v_cmp_lt_u32_e64 s1, 31, v0
	v_cmp_gt_u32_e64 s16, 0x144, v0
	v_and_b32_e32 v13, 28, v8
	v_cmp_eq_u32_e64 s8, 0, v9
	v_cmp_lt_u32_e64 s9, 1, v9
	v_cmp_lt_u32_e64 s10, 3, v9
	v_lshlrev_b32_e32 v16, 2, v3
	v_cmp_eq_u32_e64 s11, v4, v0
	v_add_nc_u32_e32 v17, v15, v5
	s_and_b32 vcc_lo, exec_lo, s17
	v_cmp_gt_u32_e64 s17, 0xa2, v0
	s_mov_b32 s24, -1
	s_waitcnt vmcnt(1)
	v_not_b32_e32 v9, v1
	v_not_b32_e32 v10, v2
	s_cbranch_vccnz .LBB33_19
; %bb.1:
	s_waitcnt vmcnt(0)
	v_dual_mov_b32 v20, 0 :: v_dual_mov_b32 v7, v18
	s_delay_alu instid0(VALU_DEP_2)
	v_dual_mov_b32 v1, v9 :: v_dual_mov_b32 v2, v10
	s_sub_i32 s24, s23, s22
	s_branch .LBB33_3
.LBB33_2:                               ;   in Loop: Header=BB33_3 Depth=1
	v_lshlrev_b32_e32 v7, 1, v4
	v_lshlrev_b32_e32 v8, 1, v3
	s_barrier
	buffer_gl0_inv
	ds_store_b32 v5, v22
	ds_store_b32 v6, v21
	v_sub_nc_u32_e32 v7, v5, v7
	v_sub_nc_u32_e32 v8, v6, v8
	s_waitcnt lgkmcnt(0)
	s_barrier
	buffer_gl0_inv
	ds_load_b64 v[1:2], v15
	s_waitcnt lgkmcnt(0)
	s_barrier
	buffer_gl0_inv
	ds_store_b16 v7, v19
	ds_store_b16_d16_hi v8, v19
	s_waitcnt lgkmcnt(0)
	s_barrier
	buffer_gl0_inv
	ds_load_b32 v7, v17
	s_add_i32 s24, s24, -4
	s_waitcnt lgkmcnt(0)
	s_barrier
	buffer_gl0_inv
	s_cbranch_execz .LBB33_18
.LBB33_3:                               ; =>This Inner Loop Header: Depth=1
	s_delay_alu instid0(VALU_DEP_1)
	v_dual_mov_b32 v21, v2 :: v_dual_mov_b32 v22, v1
	v_mov_b32_e32 v19, v7
	ds_store_2addr_b32 v11, v20, v20 offset1:162
	s_and_saveexec_b32 s25, s12
	s_cbranch_execz .LBB33_10
; %bb.4:                                ;   in Loop: Header=BB33_3 Depth=1
	ds_store_b32 v11, v20 offset:1296
	s_and_b32 exec_lo, exec_lo, s13
	s_cbranch_execz .LBB33_10
; %bb.5:                                ;   in Loop: Header=BB33_3 Depth=1
	ds_store_b32 v11, v20 offset:1944
	s_and_b32 exec_lo, exec_lo, s14
	;; [unrolled: 4-line block ×5, first 2 shown]
	s_cbranch_execz .LBB33_10
; %bb.9:                                ;   in Loop: Header=BB33_3 Depth=1
	ds_store_b32 v11, v20 offset:4536
.LBB33_10:                              ;   in Loop: Header=BB33_3 Depth=1
	s_or_b32 exec_lo, exec_lo, s25
	s_min_u32 s25, s24, 4
	v_lshrrev_b32_e32 v1, s22, v22
	s_lshl_b32 s25, -1, s25
	s_delay_alu instid0(SALU_CYCLE_1)
	s_not_b32 s25, s25
	s_delay_alu instid0(VALU_DEP_1) | instid1(SALU_CYCLE_1)
	v_and_b32_e32 v1, s25, v1
	s_delay_alu instid0(VALU_DEP_1) | instskip(SKIP_1) | instid1(VALU_DEP_2)
	v_and_b32_e32 v2, 7, v1
	v_lshrrev_b32_e32 v1, 3, v1
	v_mul_u32_u24_e32 v2, 0xa2, v2
	s_delay_alu instid0(VALU_DEP_1) | instskip(NEXT) | instid1(VALU_DEP_1)
	v_add_lshl_u32 v2, v2, v0, 1
	v_add_lshl_u32 v23, v2, v1, 1
	v_lshrrev_b32_e32 v1, s22, v21
	ds_load_u16 v24, v23
	v_and_b32_e32 v1, s25, v1
	s_delay_alu instid0(VALU_DEP_1) | instskip(SKIP_1) | instid1(VALU_DEP_2)
	v_and_b32_e32 v2, 7, v1
	v_lshrrev_b32_e32 v1, 3, v1
	v_mul_u32_u24_e32 v2, 0xa2, v2
	s_delay_alu instid0(VALU_DEP_1) | instskip(SKIP_2) | instid1(VALU_DEP_2)
	v_add_lshl_u32 v2, v2, v0, 1
	s_waitcnt lgkmcnt(0)
	v_add_nc_u16 v3, v24, 1
	v_add_lshl_u32 v25, v2, v1, 1
	ds_store_b16 v23, v3
	ds_load_u16 v26, v25
	s_waitcnt lgkmcnt(0)
	v_add_nc_u16 v1, v26, 1
	ds_store_b16 v25, v1
	s_waitcnt lgkmcnt(0)
	s_barrier
	buffer_gl0_inv
	ds_load_2addr_b64 v[5:8], v12 offset1:1
	ds_load_2addr_b64 v[1:4], v12 offset0:2 offset1:3
	s_waitcnt lgkmcnt(1)
	v_add_nc_u32_e32 v27, v6, v5
	s_delay_alu instid0(VALU_DEP_1) | instskip(SKIP_1) | instid1(VALU_DEP_1)
	v_add3_u32 v27, v27, v7, v8
	s_waitcnt lgkmcnt(0)
	v_add3_u32 v27, v27, v1, v2
	s_delay_alu instid0(VALU_DEP_1) | instskip(NEXT) | instid1(VALU_DEP_1)
	v_add3_u32 v4, v27, v3, v4
	v_mov_b32_dpp v27, v4 row_shr:1 row_mask:0xf bank_mask:0xf
	s_delay_alu instid0(VALU_DEP_1) | instskip(NEXT) | instid1(VALU_DEP_1)
	v_cndmask_b32_e64 v27, v27, 0, s3
	v_add_nc_u32_e32 v4, v27, v4
	s_delay_alu instid0(VALU_DEP_1) | instskip(NEXT) | instid1(VALU_DEP_1)
	v_mov_b32_dpp v27, v4 row_shr:2 row_mask:0xf bank_mask:0xf
	v_cndmask_b32_e64 v27, 0, v27, s4
	s_delay_alu instid0(VALU_DEP_1) | instskip(NEXT) | instid1(VALU_DEP_1)
	v_add_nc_u32_e32 v4, v4, v27
	v_mov_b32_dpp v27, v4 row_shr:4 row_mask:0xf bank_mask:0xf
	s_delay_alu instid0(VALU_DEP_1) | instskip(NEXT) | instid1(VALU_DEP_1)
	v_cndmask_b32_e64 v27, 0, v27, s5
	v_add_nc_u32_e32 v4, v4, v27
	s_delay_alu instid0(VALU_DEP_1) | instskip(NEXT) | instid1(VALU_DEP_1)
	v_mov_b32_dpp v27, v4 row_shr:8 row_mask:0xf bank_mask:0xf
	v_cndmask_b32_e64 v27, 0, v27, s6
	s_delay_alu instid0(VALU_DEP_1) | instskip(SKIP_3) | instid1(VALU_DEP_1)
	v_add_nc_u32_e32 v4, v4, v27
	ds_swizzle_b32 v27, v4 offset:swizzle(BROADCAST,32,15)
	s_waitcnt lgkmcnt(0)
	v_cndmask_b32_e64 v27, v27, 0, s7
	v_add_nc_u32_e32 v4, v4, v27
	s_and_saveexec_b32 s25, s11
	s_cbranch_execz .LBB33_12
; %bb.11:                               ;   in Loop: Header=BB33_3 Depth=1
	ds_store_b32 v13, v4 offset:5184
.LBB33_12:                              ;   in Loop: Header=BB33_3 Depth=1
	s_or_b32 exec_lo, exec_lo, s25
	s_waitcnt lgkmcnt(0)
	s_barrier
	buffer_gl0_inv
	s_and_saveexec_b32 s25, s0
	s_cbranch_execz .LBB33_14
; %bb.13:                               ;   in Loop: Header=BB33_3 Depth=1
	ds_load_b32 v27, v14 offset:5184
	s_waitcnt lgkmcnt(0)
	v_mov_b32_dpp v28, v27 row_shr:1 row_mask:0xf bank_mask:0xf
	s_delay_alu instid0(VALU_DEP_1) | instskip(NEXT) | instid1(VALU_DEP_1)
	v_cndmask_b32_e64 v28, v28, 0, s8
	v_add_nc_u32_e32 v27, v28, v27
	s_delay_alu instid0(VALU_DEP_1) | instskip(NEXT) | instid1(VALU_DEP_1)
	v_mov_b32_dpp v28, v27 row_shr:2 row_mask:0xf bank_mask:0xf
	v_cndmask_b32_e64 v28, 0, v28, s9
	s_delay_alu instid0(VALU_DEP_1) | instskip(NEXT) | instid1(VALU_DEP_1)
	v_add_nc_u32_e32 v27, v27, v28
	v_mov_b32_dpp v28, v27 row_shr:4 row_mask:0xf bank_mask:0xf
	s_delay_alu instid0(VALU_DEP_1) | instskip(NEXT) | instid1(VALU_DEP_1)
	v_cndmask_b32_e64 v28, 0, v28, s10
	v_add_nc_u32_e32 v27, v27, v28
	ds_store_b32 v14, v27 offset:5184
.LBB33_14:                              ;   in Loop: Header=BB33_3 Depth=1
	s_or_b32 exec_lo, exec_lo, s25
	v_mov_b32_e32 v27, 0
	s_waitcnt lgkmcnt(0)
	s_barrier
	buffer_gl0_inv
	s_and_saveexec_b32 s25, s1
	s_cbranch_execz .LBB33_16
; %bb.15:                               ;   in Loop: Header=BB33_3 Depth=1
	ds_load_b32 v27, v13 offset:5180
.LBB33_16:                              ;   in Loop: Header=BB33_3 Depth=1
	s_or_b32 exec_lo, exec_lo, s25
	s_waitcnt lgkmcnt(0)
	v_add_nc_u32_e32 v4, v27, v4
	ds_load_b32 v28, v20 offset:5204
	s_add_i32 s22, s22, 4
	s_delay_alu instid0(SALU_CYCLE_1) | instskip(SKIP_3) | instid1(VALU_DEP_1)
	s_cmp_ge_u32 s22, s23
	ds_bpermute_b32 v4, v16, v4
	s_waitcnt lgkmcnt(0)
	v_cndmask_b32_e64 v4, v4, v27, s2
	v_lshl_add_u32 v4, v28, 16, v4
	s_delay_alu instid0(VALU_DEP_1) | instskip(NEXT) | instid1(VALU_DEP_1)
	v_add_nc_u32_e32 v5, v4, v5
	v_add_nc_u32_e32 v6, v5, v6
	s_delay_alu instid0(VALU_DEP_1) | instskip(NEXT) | instid1(VALU_DEP_1)
	v_add_nc_u32_e32 v7, v6, v7
	v_add_nc_u32_e32 v27, v7, v8
	;; [unrolled: 3-line block ×3, first 2 shown]
	s_delay_alu instid0(VALU_DEP_1)
	v_add_nc_u32_e32 v2, v1, v3
	v_and_b32_e32 v3, 0xffff, v24
	ds_store_2addr_b64 v12, v[4:5], v[6:7] offset1:1
	ds_store_2addr_b64 v12, v[27:28], v[1:2] offset0:2 offset1:3
	s_waitcnt lgkmcnt(0)
	s_barrier
	buffer_gl0_inv
	ds_load_u16 v1, v23
	ds_load_u16 v2, v25
	v_and_b32_e32 v5, 0xffff, v26
	s_waitcnt lgkmcnt(0)
	v_add_nc_u32_e32 v4, v1, v3
	s_delay_alu instid0(VALU_DEP_2) | instskip(NEXT) | instid1(VALU_DEP_2)
	v_add_nc_u32_e32 v3, v2, v5
	v_lshlrev_b32_e32 v5, 2, v4
	s_delay_alu instid0(VALU_DEP_2)
	v_lshlrev_b32_e32 v6, 2, v3
	s_cbranch_scc0 .LBB33_2
; %bb.17:
                                        ; implicit-def: $vgpr2
                                        ; implicit-def: $vgpr7
                                        ; implicit-def: $sgpr24
.LBB33_18:
	s_barrier
	buffer_gl0_inv
	ds_store_b32 v5, v22
	ds_store_b32 v6, v21
	s_waitcnt lgkmcnt(0)
	s_barrier
	buffer_gl0_inv
	ds_load_2addr_b32 v[1:2], v11 offset1:162
	v_lshlrev_b32_e32 v4, 1, v4
	v_lshlrev_b32_e32 v7, 1, v3
	v_add_nc_u32_e32 v3, 0xa2, v0
	s_waitcnt lgkmcnt(0)
	s_barrier
	v_sub_nc_u32_e32 v4, v5, v4
	v_sub_nc_u32_e32 v5, v6, v7
	buffer_gl0_inv
	ds_store_b16 v4, v19
	ds_store_b16_d16_hi v5, v19
	s_waitcnt lgkmcnt(0)
	s_barrier
	s_branch .LBB33_38
.LBB33_19:
                                        ; implicit-def: $vgpr2
                                        ; implicit-def: $vgpr3
	s_and_b32 vcc_lo, exec_lo, s24
	s_cbranch_vccz .LBB33_38
; %bb.20:
	v_cmp_gt_u32_e64 s12, 0x3cc, v0
	v_cmp_gt_u32_e64 s13, 0x32a, v0
	;; [unrolled: 1-line block ×6, first 2 shown]
	v_mov_b32_e32 v22, 0
	s_mov_b32 s22, 0
	s_branch .LBB33_22
.LBB33_21:                              ;   in Loop: Header=BB33_22 Depth=1
	s_delay_alu instid0(VALU_DEP_2) | instskip(SKIP_1) | instid1(VALU_DEP_3)
	v_lshlrev_b32_e32 v1, 2, v4
	v_lshlrev_b32_e32 v5, 1, v4
	;; [unrolled: 1-line block ×4, first 2 shown]
	s_barrier
	buffer_gl0_inv
	ds_store_b32 v1, v21
	ds_store_b32 v2, v20
	v_sub_nc_u32_e32 v1, v1, v5
	v_sub_nc_u32_e32 v2, v2, v6
	s_waitcnt lgkmcnt(0)
	s_barrier
	buffer_gl0_inv
	ds_load_b64 v[9:10], v15
	s_waitcnt lgkmcnt(0)
	s_barrier
	buffer_gl0_inv
	ds_store_b16 v1, v19
	ds_store_b16_d16_hi v2, v19
	s_waitcnt lgkmcnt(0)
	s_barrier
	buffer_gl0_inv
	ds_load_b32 v18, v17
	s_add_i32 s22, s22, 4
	s_waitcnt lgkmcnt(0)
	s_barrier
	buffer_gl0_inv
	s_cbranch_execz .LBB33_37
.LBB33_22:                              ; =>This Inner Loop Header: Depth=1
	v_dual_mov_b32 v20, v10 :: v_dual_mov_b32 v21, v9
	s_waitcnt vmcnt(0)
	v_mov_b32_e32 v19, v18
	ds_store_2addr_b32 v17, v22, v22 offset1:162
	s_and_saveexec_b32 s23, s12
	s_cbranch_execz .LBB33_29
; %bb.23:                               ;   in Loop: Header=BB33_22 Depth=1
	ds_store_b32 v17, v22 offset:1296
	s_and_b32 exec_lo, exec_lo, s13
	s_cbranch_execz .LBB33_29
; %bb.24:                               ;   in Loop: Header=BB33_22 Depth=1
	ds_store_b32 v17, v22 offset:1944
	s_and_b32 exec_lo, exec_lo, s14
	;; [unrolled: 4-line block ×5, first 2 shown]
	s_cbranch_execz .LBB33_29
; %bb.28:                               ;   in Loop: Header=BB33_22 Depth=1
	ds_store_b32 v17, v22 offset:4536
.LBB33_29:                              ;   in Loop: Header=BB33_22 Depth=1
	s_or_b32 exec_lo, exec_lo, s23
	v_lshrrev_b32_e32 v1, s22, v21
	v_bfe_u32 v2, v21, s22, 3
	s_delay_alu instid0(VALU_DEP_2) | instskip(NEXT) | instid1(VALU_DEP_2)
	v_lshrrev_b32_e32 v1, 2, v1
	v_mad_u32_u24 v2, 0xa2, v2, v0
	s_delay_alu instid0(VALU_DEP_2) | instskip(NEXT) | instid1(VALU_DEP_1)
	v_and_b32_e32 v1, 2, v1
	v_lshl_or_b32 v10, v2, 2, v1
	v_lshrrev_b32_e32 v1, s22, v20
	v_bfe_u32 v2, v20, s22, 3
	ds_load_u16 v9, v10
	v_lshrrev_b32_e32 v1, 2, v1
	v_mad_u32_u24 v2, 0xa2, v2, v0
	s_delay_alu instid0(VALU_DEP_2) | instskip(NEXT) | instid1(VALU_DEP_1)
	v_and_b32_e32 v1, 2, v1
	v_lshl_or_b32 v18, v2, 2, v1
	s_waitcnt lgkmcnt(0)
	v_add_nc_u16 v3, v9, 1
	ds_store_b16 v10, v3
	ds_load_u16 v23, v18
	s_waitcnt lgkmcnt(0)
	v_add_nc_u16 v1, v23, 1
	ds_store_b16 v18, v1
	s_waitcnt lgkmcnt(0)
	s_barrier
	buffer_gl0_inv
	ds_load_2addr_b64 v[5:8], v12 offset1:1
	ds_load_2addr_b64 v[1:4], v12 offset0:2 offset1:3
	s_waitcnt lgkmcnt(1)
	v_add_nc_u32_e32 v24, v6, v5
	s_delay_alu instid0(VALU_DEP_1) | instskip(SKIP_1) | instid1(VALU_DEP_1)
	v_add3_u32 v24, v24, v7, v8
	s_waitcnt lgkmcnt(0)
	v_add3_u32 v24, v24, v1, v2
	s_delay_alu instid0(VALU_DEP_1) | instskip(NEXT) | instid1(VALU_DEP_1)
	v_add3_u32 v4, v24, v3, v4
	v_mov_b32_dpp v24, v4 row_shr:1 row_mask:0xf bank_mask:0xf
	s_delay_alu instid0(VALU_DEP_1) | instskip(NEXT) | instid1(VALU_DEP_1)
	v_cndmask_b32_e64 v24, v24, 0, s3
	v_add_nc_u32_e32 v4, v24, v4
	s_delay_alu instid0(VALU_DEP_1) | instskip(NEXT) | instid1(VALU_DEP_1)
	v_mov_b32_dpp v24, v4 row_shr:2 row_mask:0xf bank_mask:0xf
	v_cndmask_b32_e64 v24, 0, v24, s4
	s_delay_alu instid0(VALU_DEP_1) | instskip(NEXT) | instid1(VALU_DEP_1)
	v_add_nc_u32_e32 v4, v4, v24
	v_mov_b32_dpp v24, v4 row_shr:4 row_mask:0xf bank_mask:0xf
	s_delay_alu instid0(VALU_DEP_1) | instskip(NEXT) | instid1(VALU_DEP_1)
	v_cndmask_b32_e64 v24, 0, v24, s5
	v_add_nc_u32_e32 v4, v4, v24
	s_delay_alu instid0(VALU_DEP_1) | instskip(NEXT) | instid1(VALU_DEP_1)
	v_mov_b32_dpp v24, v4 row_shr:8 row_mask:0xf bank_mask:0xf
	v_cndmask_b32_e64 v24, 0, v24, s6
	s_delay_alu instid0(VALU_DEP_1) | instskip(SKIP_3) | instid1(VALU_DEP_1)
	v_add_nc_u32_e32 v4, v4, v24
	ds_swizzle_b32 v24, v4 offset:swizzle(BROADCAST,32,15)
	s_waitcnt lgkmcnt(0)
	v_cndmask_b32_e64 v24, v24, 0, s7
	v_add_nc_u32_e32 v4, v4, v24
	s_and_saveexec_b32 s23, s11
	s_cbranch_execz .LBB33_31
; %bb.30:                               ;   in Loop: Header=BB33_22 Depth=1
	ds_store_b32 v13, v4 offset:5184
.LBB33_31:                              ;   in Loop: Header=BB33_22 Depth=1
	s_or_b32 exec_lo, exec_lo, s23
	s_waitcnt lgkmcnt(0)
	s_barrier
	buffer_gl0_inv
	s_and_saveexec_b32 s23, s0
	s_cbranch_execz .LBB33_33
; %bb.32:                               ;   in Loop: Header=BB33_22 Depth=1
	ds_load_b32 v24, v14 offset:5184
	s_waitcnt lgkmcnt(0)
	v_mov_b32_dpp v25, v24 row_shr:1 row_mask:0xf bank_mask:0xf
	s_delay_alu instid0(VALU_DEP_1) | instskip(NEXT) | instid1(VALU_DEP_1)
	v_cndmask_b32_e64 v25, v25, 0, s8
	v_add_nc_u32_e32 v24, v25, v24
	s_delay_alu instid0(VALU_DEP_1) | instskip(NEXT) | instid1(VALU_DEP_1)
	v_mov_b32_dpp v25, v24 row_shr:2 row_mask:0xf bank_mask:0xf
	v_cndmask_b32_e64 v25, 0, v25, s9
	s_delay_alu instid0(VALU_DEP_1) | instskip(NEXT) | instid1(VALU_DEP_1)
	v_add_nc_u32_e32 v24, v24, v25
	v_mov_b32_dpp v25, v24 row_shr:4 row_mask:0xf bank_mask:0xf
	s_delay_alu instid0(VALU_DEP_1) | instskip(NEXT) | instid1(VALU_DEP_1)
	v_cndmask_b32_e64 v25, 0, v25, s10
	v_add_nc_u32_e32 v24, v24, v25
	ds_store_b32 v14, v24 offset:5184
.LBB33_33:                              ;   in Loop: Header=BB33_22 Depth=1
	s_or_b32 exec_lo, exec_lo, s23
	v_mov_b32_e32 v24, 0
	s_waitcnt lgkmcnt(0)
	s_barrier
	buffer_gl0_inv
	s_and_saveexec_b32 s23, s1
	s_cbranch_execz .LBB33_35
; %bb.34:                               ;   in Loop: Header=BB33_22 Depth=1
	ds_load_b32 v24, v13 offset:5180
.LBB33_35:                              ;   in Loop: Header=BB33_22 Depth=1
	s_or_b32 exec_lo, exec_lo, s23
	s_waitcnt lgkmcnt(0)
	v_add_nc_u32_e32 v4, v24, v4
	ds_load_b32 v25, v22 offset:5204
	s_cmp_gt_u32 s22, 27
	ds_bpermute_b32 v4, v16, v4
	s_waitcnt lgkmcnt(0)
	v_cndmask_b32_e64 v4, v4, v24, s2
	s_delay_alu instid0(VALU_DEP_1) | instskip(NEXT) | instid1(VALU_DEP_1)
	v_lshl_add_u32 v4, v25, 16, v4
	v_add_nc_u32_e32 v5, v4, v5
	s_delay_alu instid0(VALU_DEP_1) | instskip(NEXT) | instid1(VALU_DEP_1)
	v_add_nc_u32_e32 v6, v5, v6
	v_add_nc_u32_e32 v7, v6, v7
	s_delay_alu instid0(VALU_DEP_1) | instskip(NEXT) | instid1(VALU_DEP_1)
	v_add_nc_u32_e32 v24, v7, v8
	;; [unrolled: 3-line block ×3, first 2 shown]
	v_add_nc_u32_e32 v2, v1, v3
	v_and_b32_e32 v3, 0xffff, v9
	ds_store_2addr_b64 v12, v[4:5], v[6:7] offset1:1
	ds_store_2addr_b64 v12, v[24:25], v[1:2] offset0:2 offset1:3
	s_waitcnt lgkmcnt(0)
	s_barrier
	buffer_gl0_inv
	ds_load_u16 v1, v10
	ds_load_u16 v2, v18
	v_and_b32_e32 v5, 0xffff, v23
	s_waitcnt lgkmcnt(1)
	v_add_nc_u32_e32 v4, v1, v3
	s_waitcnt lgkmcnt(0)
	s_delay_alu instid0(VALU_DEP_2)
	v_add_nc_u32_e32 v3, v2, v5
	s_cbranch_scc0 .LBB33_21
; %bb.36:
                                        ; implicit-def: $vgpr10
                                        ; implicit-def: $sgpr22
                                        ; implicit-def: $vgpr18
.LBB33_37:
	s_delay_alu instid0(VALU_DEP_2) | instskip(NEXT) | instid1(VALU_DEP_2)
	v_lshlrev_b32_e32 v5, 2, v4
	v_lshlrev_b32_e32 v6, 2, v3
	s_barrier
	buffer_gl0_inv
	ds_store_b32 v5, v21
	ds_store_b32 v6, v20
	s_waitcnt lgkmcnt(0)
	s_barrier
	buffer_gl0_inv
	ds_load_2addr_b32 v[1:2], v11 offset1:162
	v_lshlrev_b32_e32 v4, 1, v4
	v_lshlrev_b32_e32 v7, 1, v3
	v_add_nc_u32_e32 v3, 0xa2, v0
	s_waitcnt lgkmcnt(0)
	s_barrier
	v_sub_nc_u32_e32 v4, v5, v4
	v_sub_nc_u32_e32 v5, v6, v7
	buffer_gl0_inv
	ds_store_b16 v4, v19
	ds_store_b16_d16_hi v5, v19
	s_waitcnt lgkmcnt(0)
	s_barrier
.LBB33_38:
	v_lshlrev_b32_e32 v0, 1, v0
	v_lshlrev_b32_e32 v3, 1, v3
	s_waitcnt vmcnt(0)
	buffer_gl0_inv
	v_not_b32_e32 v1, v1
	v_not_b32_e32 v2, v2
	ds_load_u16 v4, v0
	ds_load_u16 v3, v3
	s_clause 0x1
	global_store_b32 v11, v1, s[18:19]
	global_store_b32 v11, v2, s[18:19] offset:648
	s_waitcnt lgkmcnt(1)
	global_store_b16 v0, v4, s[20:21]
	s_waitcnt lgkmcnt(0)
	global_store_b16 v0, v3, s[20:21] offset:324
	s_nop 0
	s_sendmsg sendmsg(MSG_DEALLOC_VGPRS)
	s_endpgm
	.section	.rodata,"a",@progbits
	.p2align	6, 0x0
	.amdhsa_kernel _Z21sort_key_value_kernelILj162ELj2ELb1ELb1EjsEvPT3_PT4_jj
		.amdhsa_group_segment_fixed_size 5216
		.amdhsa_private_segment_fixed_size 0
		.amdhsa_kernarg_size 24
		.amdhsa_user_sgpr_count 15
		.amdhsa_user_sgpr_dispatch_ptr 0
		.amdhsa_user_sgpr_queue_ptr 0
		.amdhsa_user_sgpr_kernarg_segment_ptr 1
		.amdhsa_user_sgpr_dispatch_id 0
		.amdhsa_user_sgpr_private_segment_size 0
		.amdhsa_wavefront_size32 1
		.amdhsa_uses_dynamic_stack 0
		.amdhsa_enable_private_segment 0
		.amdhsa_system_sgpr_workgroup_id_x 1
		.amdhsa_system_sgpr_workgroup_id_y 0
		.amdhsa_system_sgpr_workgroup_id_z 0
		.amdhsa_system_sgpr_workgroup_info 0
		.amdhsa_system_vgpr_workitem_id 0
		.amdhsa_next_free_vgpr 29
		.amdhsa_next_free_sgpr 26
		.amdhsa_reserve_vcc 1
		.amdhsa_float_round_mode_32 0
		.amdhsa_float_round_mode_16_64 0
		.amdhsa_float_denorm_mode_32 3
		.amdhsa_float_denorm_mode_16_64 3
		.amdhsa_dx10_clamp 1
		.amdhsa_ieee_mode 1
		.amdhsa_fp16_overflow 0
		.amdhsa_workgroup_processor_mode 1
		.amdhsa_memory_ordered 1
		.amdhsa_forward_progress 0
		.amdhsa_shared_vgpr_count 0
		.amdhsa_exception_fp_ieee_invalid_op 0
		.amdhsa_exception_fp_denorm_src 0
		.amdhsa_exception_fp_ieee_div_zero 0
		.amdhsa_exception_fp_ieee_overflow 0
		.amdhsa_exception_fp_ieee_underflow 0
		.amdhsa_exception_fp_ieee_inexact 0
		.amdhsa_exception_int_div_zero 0
	.end_amdhsa_kernel
	.section	.text._Z21sort_key_value_kernelILj162ELj2ELb1ELb1EjsEvPT3_PT4_jj,"axG",@progbits,_Z21sort_key_value_kernelILj162ELj2ELb1ELb1EjsEvPT3_PT4_jj,comdat
.Lfunc_end33:
	.size	_Z21sort_key_value_kernelILj162ELj2ELb1ELb1EjsEvPT3_PT4_jj, .Lfunc_end33-_Z21sort_key_value_kernelILj162ELj2ELb1ELb1EjsEvPT3_PT4_jj
                                        ; -- End function
	.section	.AMDGPU.csdata,"",@progbits
; Kernel info:
; codeLenInByte = 2888
; NumSgprs: 28
; NumVgprs: 29
; ScratchSize: 0
; MemoryBound: 0
; FloatMode: 240
; IeeeMode: 1
; LDSByteSize: 5216 bytes/workgroup (compile time only)
; SGPRBlocks: 3
; VGPRBlocks: 3
; NumSGPRsForWavesPerEU: 28
; NumVGPRsForWavesPerEU: 29
; Occupancy: 15
; WaveLimiterHint : 1
; COMPUTE_PGM_RSRC2:SCRATCH_EN: 0
; COMPUTE_PGM_RSRC2:USER_SGPR: 15
; COMPUTE_PGM_RSRC2:TRAP_HANDLER: 0
; COMPUTE_PGM_RSRC2:TGID_X_EN: 1
; COMPUTE_PGM_RSRC2:TGID_Y_EN: 0
; COMPUTE_PGM_RSRC2:TGID_Z_EN: 0
; COMPUTE_PGM_RSRC2:TIDIG_COMP_CNT: 0
	.section	.text._Z21sort_key_value_kernelILj102ELj3ELb0ELb1EtiEvPT3_PT4_jj,"axG",@progbits,_Z21sort_key_value_kernelILj102ELj3ELb0ELb1EtiEvPT3_PT4_jj,comdat
	.protected	_Z21sort_key_value_kernelILj102ELj3ELb0ELb1EtiEvPT3_PT4_jj ; -- Begin function _Z21sort_key_value_kernelILj102ELj3ELb0ELb1EtiEvPT3_PT4_jj
	.globl	_Z21sort_key_value_kernelILj102ELj3ELb0ELb1EtiEvPT3_PT4_jj
	.p2align	8
	.type	_Z21sort_key_value_kernelILj102ELj3ELb0ELb1EtiEvPT3_PT4_jj,@function
_Z21sort_key_value_kernelILj102ELj3ELb0ELb1EtiEvPT3_PT4_jj: ; @_Z21sort_key_value_kernelILj102ELj3ELb0ELb1EtiEvPT3_PT4_jj
; %bb.0:
	s_clause 0x1
	s_load_b128 s[4:7], s[0:1], 0x0
	s_load_b64 s[24:25], s[0:1], 0x10
	v_mul_u32_u24_e32 v1, 3, v0
	s_mov_b32 s3, 0
	s_mul_i32 s2, s15, 0x132
	v_lshlrev_b32_e32 v17, 5, v0
	s_lshl_b64 s[8:9], s[2:3], 1
	v_lshlrev_b32_e32 v12, 1, v1
	v_lshlrev_b32_e32 v13, 2, v1
	v_mbcnt_lo_u32_b32 v1, -1, 0
	v_mad_i32_i24 v21, 0xffffffe4, v0, v17
	v_lshrrev_b32_e32 v8, 3, v0
	v_cmp_gt_u32_e64 s11, 0x330, v0
	v_lshlrev_b32_e32 v22, 2, v0
	v_add_nc_u32_e32 v7, -1, v1
	v_and_b32_e32 v4, 15, v1
	v_and_b32_e32 v5, 16, v1
	;; [unrolled: 1-line block ×3, first 2 shown]
	v_lshl_add_u32 v18, v0, 1, v21
	v_cmp_gt_i32_e32 vcc_lo, 0, v7
	s_waitcnt lgkmcnt(0)
	s_add_u32 s20, s4, s8
	s_addc_u32 s21, s5, s9
	s_lshl_b64 s[0:1], s[2:3], 2
	s_clause 0x1
	global_load_u16 v2, v12, s[20:21] offset:4
	global_load_b32 v3, v12, s[20:21]
	s_add_u32 s22, s6, s0
	s_addc_u32 s23, s7, s1
	v_and_b32_e32 v6, 0x60, v0
	global_load_b96 v[9:11], v13, s[22:23]
	v_cmp_eq_u32_e64 s0, 0, v1
	v_cndmask_b32_e32 v1, v7, v1, vcc_lo
	v_cmp_eq_u32_e64 s9, 0, v4
	v_cmp_lt_u32_e64 s8, 1, v4
	v_cmp_lt_u32_e64 s7, 3, v4
	;; [unrolled: 1-line block ×3, first 2 shown]
	v_min_u32_e32 v4, 0x46, v6
	s_cmp_eq_u32 s24, 0
	v_cmp_gt_u32_e64 s2, 4, v0
	s_cselect_b32 s12, -1, 0
	s_cmp_eq_u32 s25, 16
	v_add_nc_u32_e32 v4, 31, v4
	s_cselect_b32 s13, -1, 0
	v_cmp_lt_u32_e64 s1, 31, v0
	s_and_b32 s12, s12, s13
	v_cmp_eq_u32_e64 s5, 0, v5
	v_and_b32_e32 v20, 12, v8
	v_cmp_eq_u32_e64 s4, 0, v14
	v_cmp_lt_u32_e64 s3, 1, v14
	v_lshlrev_b32_e32 v19, 2, v1
	v_cmp_eq_u32_e64 s10, v4, v0
	v_mad_u32_u24 v16, v0, 6, v18
	s_and_b32 vcc_lo, exec_lo, s12
	v_cmp_gt_u32_e64 s12, 0x2ca, v0
	s_mov_b32 s13, -1
	s_waitcnt vmcnt(2)
	v_xor_b32_e32 v23, -1, v2
	s_waitcnt vmcnt(1)
	v_xor_b32_e32 v24, -1, v3
	s_cbranch_vccnz .LBB34_21
; %bb.1:
	v_cmp_gt_u32_e64 s13, 0x264, v0
	v_cmp_gt_u32_e64 s14, 0x1fe, v0
	;; [unrolled: 1-line block ×6, first 2 shown]
	s_waitcnt vmcnt(0)
	v_dual_mov_b32 v26, 0 :: v_dual_mov_b32 v1, v9
	v_dual_mov_b32 v2, v10 :: v_dual_mov_b32 v7, v23
	v_mov_b32_e32 v8, v11
	v_mov_b32_e32 v28, v24
	s_sub_i32 s19, s25, s24
	s_branch .LBB34_3
.LBB34_2:                               ;   in Loop: Header=BB34_3 Depth=1
	s_delay_alu instid0(VALU_DEP_3) | instskip(NEXT) | instid1(VALU_DEP_3)
	v_add_nc_u32_e32 v1, v5, v5
	v_add_nc_u32_e32 v2, v4, v4
	s_delay_alu instid0(VALU_DEP_3)
	v_add_nc_u32_e32 v8, v3, v3
	s_barrier
	buffer_gl0_inv
	ds_store_b16 v5, v28
	ds_store_b16 v4, v29
	;; [unrolled: 1-line block ×3, first 2 shown]
	s_waitcnt lgkmcnt(0)
	s_barrier
	buffer_gl0_inv
	ds_load_b32 v28, v18
	ds_load_u16 v7, v18 offset:4
	s_waitcnt lgkmcnt(0)
	s_barrier
	buffer_gl0_inv
	ds_store_b32 v1, v25
	ds_store_b32 v2, v15
	;; [unrolled: 1-line block ×3, first 2 shown]
	s_waitcnt lgkmcnt(0)
	s_barrier
	buffer_gl0_inv
	ds_load_2addr_b32 v[1:2], v16 offset1:1
	ds_load_b32 v8, v16 offset:8
	s_add_i32 s19, s19, -4
	s_waitcnt lgkmcnt(0)
	s_barrier
	buffer_gl0_inv
	s_cbranch_execz .LBB34_20
.LBB34_3:                               ; =>This Inner Loop Header: Depth=1
	s_delay_alu instid0(VALU_DEP_2)
	v_dual_mov_b32 v27, v7 :: v_dual_mov_b32 v14, v8
	v_mov_b32_e32 v15, v2
	v_mov_b32_e32 v25, v1
	s_and_saveexec_b32 s26, s11
	s_cbranch_execz .LBB34_12
; %bb.4:                                ;   in Loop: Header=BB34_3 Depth=1
	ds_store_b32 v22, v26
	s_and_b32 exec_lo, exec_lo, s12
	s_cbranch_execz .LBB34_12
; %bb.5:                                ;   in Loop: Header=BB34_3 Depth=1
	ds_store_b32 v22, v26 offset:408
	s_and_b32 exec_lo, exec_lo, s13
	s_cbranch_execz .LBB34_12
; %bb.6:                                ;   in Loop: Header=BB34_3 Depth=1
	ds_store_b32 v22, v26 offset:816
	;; [unrolled: 4-line block ×5, first 2 shown]
	s_and_b32 exec_lo, exec_lo, s17
	s_cbranch_execz .LBB34_12
; %bb.10:                               ;   in Loop: Header=BB34_3 Depth=1
	ds_store_b32 v22, v26 offset:2448
	s_and_b32 exec_lo, exec_lo, s18
	s_cbranch_execz .LBB34_12
; %bb.11:                               ;   in Loop: Header=BB34_3 Depth=1
	ds_store_b32 v22, v26 offset:2856
.LBB34_12:                              ;   in Loop: Header=BB34_3 Depth=1
	s_or_b32 exec_lo, exec_lo, s26
	v_and_b32_e32 v1, 0xffff, v28
	s_min_u32 s26, s19, 4
	v_lshrrev_b32_e32 v29, 16, v28
	s_lshl_b32 s26, -1, s26
	v_and_b32_e32 v3, 0xffff, v27
	v_lshrrev_b32_e32 v1, s24, v1
	s_not_b32 s26, s26
	s_delay_alu instid0(VALU_DEP_1) | instid1(SALU_CYCLE_1)
	v_and_b32_e32 v1, s26, v1
	s_delay_alu instid0(VALU_DEP_1) | instskip(SKIP_1) | instid1(VALU_DEP_2)
	v_and_b32_e32 v2, 7, v1
	v_lshrrev_b32_e32 v1, 3, v1
	v_mul_u32_u24_e32 v2, 0x66, v2
	s_delay_alu instid0(VALU_DEP_1) | instskip(NEXT) | instid1(VALU_DEP_1)
	v_add_lshl_u32 v2, v2, v0, 1
	v_add_lshl_u32 v31, v2, v1, 1
	v_lshrrev_b32_e32 v1, s24, v29
	ds_load_u16 v30, v31
	v_and_b32_e32 v1, s26, v1
	s_delay_alu instid0(VALU_DEP_1) | instskip(SKIP_1) | instid1(VALU_DEP_2)
	v_and_b32_e32 v2, 7, v1
	v_lshrrev_b32_e32 v1, 3, v1
	v_mul_u32_u24_e32 v2, 0x66, v2
	s_delay_alu instid0(VALU_DEP_1) | instskip(SKIP_2) | instid1(VALU_DEP_2)
	v_add_lshl_u32 v2, v2, v0, 1
	s_waitcnt lgkmcnt(0)
	v_add_nc_u16 v4, v30, 1
	v_add_lshl_u32 v32, v2, v1, 1
	v_lshrrev_b32_e32 v1, s24, v3
	ds_store_b16 v31, v4
	ds_load_u16 v33, v32
	v_and_b32_e32 v1, s26, v1
	s_delay_alu instid0(VALU_DEP_1) | instskip(SKIP_1) | instid1(VALU_DEP_2)
	v_and_b32_e32 v2, 7, v1
	v_lshrrev_b32_e32 v1, 3, v1
	v_mul_u32_u24_e32 v2, 0x66, v2
	s_delay_alu instid0(VALU_DEP_1) | instskip(SKIP_2) | instid1(VALU_DEP_2)
	v_add_lshl_u32 v2, v2, v0, 1
	s_waitcnt lgkmcnt(0)
	v_add_nc_u16 v3, v33, 1
	v_add_lshl_u32 v35, v2, v1, 1
	ds_store_b16 v32, v3
	ds_load_u16 v34, v35
	s_waitcnt lgkmcnt(0)
	v_add_nc_u16 v1, v34, 1
	ds_store_b16 v35, v1
	s_waitcnt lgkmcnt(0)
	s_barrier
	buffer_gl0_inv
	ds_load_2addr_b64 v[5:8], v17 offset1:1
	ds_load_2addr_b64 v[1:4], v17 offset0:2 offset1:3
	s_waitcnt lgkmcnt(1)
	v_add_nc_u32_e32 v36, v6, v5
	s_delay_alu instid0(VALU_DEP_1) | instskip(SKIP_1) | instid1(VALU_DEP_1)
	v_add3_u32 v36, v36, v7, v8
	s_waitcnt lgkmcnt(0)
	v_add3_u32 v36, v36, v1, v2
	s_delay_alu instid0(VALU_DEP_1) | instskip(NEXT) | instid1(VALU_DEP_1)
	v_add3_u32 v4, v36, v3, v4
	v_mov_b32_dpp v36, v4 row_shr:1 row_mask:0xf bank_mask:0xf
	s_delay_alu instid0(VALU_DEP_1) | instskip(NEXT) | instid1(VALU_DEP_1)
	v_cndmask_b32_e64 v36, v36, 0, s9
	v_add_nc_u32_e32 v4, v36, v4
	s_delay_alu instid0(VALU_DEP_1) | instskip(NEXT) | instid1(VALU_DEP_1)
	v_mov_b32_dpp v36, v4 row_shr:2 row_mask:0xf bank_mask:0xf
	v_cndmask_b32_e64 v36, 0, v36, s8
	s_delay_alu instid0(VALU_DEP_1) | instskip(NEXT) | instid1(VALU_DEP_1)
	v_add_nc_u32_e32 v4, v4, v36
	v_mov_b32_dpp v36, v4 row_shr:4 row_mask:0xf bank_mask:0xf
	s_delay_alu instid0(VALU_DEP_1) | instskip(NEXT) | instid1(VALU_DEP_1)
	v_cndmask_b32_e64 v36, 0, v36, s7
	v_add_nc_u32_e32 v4, v4, v36
	s_delay_alu instid0(VALU_DEP_1) | instskip(NEXT) | instid1(VALU_DEP_1)
	v_mov_b32_dpp v36, v4 row_shr:8 row_mask:0xf bank_mask:0xf
	v_cndmask_b32_e64 v36, 0, v36, s6
	s_delay_alu instid0(VALU_DEP_1) | instskip(SKIP_3) | instid1(VALU_DEP_1)
	v_add_nc_u32_e32 v4, v4, v36
	ds_swizzle_b32 v36, v4 offset:swizzle(BROADCAST,32,15)
	s_waitcnt lgkmcnt(0)
	v_cndmask_b32_e64 v36, v36, 0, s5
	v_add_nc_u32_e32 v4, v4, v36
	s_and_saveexec_b32 s26, s10
	s_cbranch_execz .LBB34_14
; %bb.13:                               ;   in Loop: Header=BB34_3 Depth=1
	ds_store_b32 v20, v4 offset:3264
.LBB34_14:                              ;   in Loop: Header=BB34_3 Depth=1
	s_or_b32 exec_lo, exec_lo, s26
	s_waitcnt lgkmcnt(0)
	s_barrier
	buffer_gl0_inv
	s_and_saveexec_b32 s26, s2
	s_cbranch_execz .LBB34_16
; %bb.15:                               ;   in Loop: Header=BB34_3 Depth=1
	ds_load_b32 v36, v21 offset:3264
	s_waitcnt lgkmcnt(0)
	v_mov_b32_dpp v37, v36 row_shr:1 row_mask:0xf bank_mask:0xf
	s_delay_alu instid0(VALU_DEP_1) | instskip(NEXT) | instid1(VALU_DEP_1)
	v_cndmask_b32_e64 v37, v37, 0, s4
	v_add_nc_u32_e32 v36, v37, v36
	s_delay_alu instid0(VALU_DEP_1) | instskip(NEXT) | instid1(VALU_DEP_1)
	v_mov_b32_dpp v37, v36 row_shr:2 row_mask:0xf bank_mask:0xf
	v_cndmask_b32_e64 v37, 0, v37, s3
	s_delay_alu instid0(VALU_DEP_1)
	v_add_nc_u32_e32 v36, v36, v37
	ds_store_b32 v21, v36 offset:3264
.LBB34_16:                              ;   in Loop: Header=BB34_3 Depth=1
	s_or_b32 exec_lo, exec_lo, s26
	v_mov_b32_e32 v36, 0
	s_waitcnt lgkmcnt(0)
	s_barrier
	buffer_gl0_inv
	s_and_saveexec_b32 s26, s1
	s_cbranch_execz .LBB34_18
; %bb.17:                               ;   in Loop: Header=BB34_3 Depth=1
	ds_load_b32 v36, v20 offset:3260
.LBB34_18:                              ;   in Loop: Header=BB34_3 Depth=1
	s_or_b32 exec_lo, exec_lo, s26
	s_waitcnt lgkmcnt(0)
	v_add_nc_u32_e32 v4, v36, v4
	ds_load_b32 v37, v26 offset:3276
	s_add_i32 s24, s24, 4
	s_delay_alu instid0(SALU_CYCLE_1) | instskip(SKIP_3) | instid1(VALU_DEP_1)
	s_cmp_ge_u32 s24, s25
	ds_bpermute_b32 v4, v19, v4
	s_waitcnt lgkmcnt(0)
	v_cndmask_b32_e64 v4, v4, v36, s0
	v_lshl_add_u32 v4, v37, 16, v4
	s_delay_alu instid0(VALU_DEP_1) | instskip(NEXT) | instid1(VALU_DEP_1)
	v_add_nc_u32_e32 v5, v4, v5
	v_add_nc_u32_e32 v6, v5, v6
	s_delay_alu instid0(VALU_DEP_1) | instskip(NEXT) | instid1(VALU_DEP_1)
	v_add_nc_u32_e32 v7, v6, v7
	v_add_nc_u32_e32 v36, v7, v8
	v_and_b32_e32 v8, 0xffff, v34
	s_delay_alu instid0(VALU_DEP_2) | instskip(NEXT) | instid1(VALU_DEP_1)
	v_add_nc_u32_e32 v37, v36, v1
	v_add_nc_u32_e32 v1, v37, v2
	s_delay_alu instid0(VALU_DEP_1)
	v_add_nc_u32_e32 v2, v1, v3
	ds_store_2addr_b64 v17, v[4:5], v[6:7] offset1:1
	ds_store_2addr_b64 v17, v[36:37], v[1:2] offset0:2 offset1:3
	v_mov_b32_e32 v6, v28
	s_waitcnt lgkmcnt(0)
	s_barrier
	buffer_gl0_inv
	ds_load_u16 v1, v31
	ds_load_u16 v2, v32
	;; [unrolled: 1-line block ×3, first 2 shown]
	v_and_b32_e32 v4, 0xffff, v30
	v_and_b32_e32 v7, 0xffff, v33
	s_waitcnt lgkmcnt(0)
	s_delay_alu instid0(VALU_DEP_2) | instskip(NEXT) | instid1(VALU_DEP_2)
	v_add_lshl_u32 v5, v1, v4, 1
	v_add_lshl_u32 v4, v2, v7, 1
	;; [unrolled: 1-line block ×3, first 2 shown]
	s_cbranch_scc0 .LBB34_2
; %bb.19:
                                        ; implicit-def: $vgpr7
                                        ; implicit-def: $vgpr28
                                        ; implicit-def: $vgpr8
                                        ; implicit-def: $vgpr2
                                        ; implicit-def: $sgpr19
.LBB34_20:
	s_barrier
	buffer_gl0_inv
	ds_store_b16 v5, v6
	ds_store_b16 v4, v29
	;; [unrolled: 1-line block ×3, first 2 shown]
	s_waitcnt lgkmcnt(0)
	s_barrier
	buffer_gl0_inv
	ds_load_b32 v1, v18
	ds_load_u16 v2, v18 offset:4
	v_add_nc_u32_e32 v5, v5, v5
	v_add_nc_u32_e32 v4, v4, v4
	;; [unrolled: 1-line block ×3, first 2 shown]
	s_mov_b32 s13, 0
	s_waitcnt lgkmcnt(0)
	s_barrier
	buffer_gl0_inv
	ds_store_b32 v5, v25
	ds_store_b32 v4, v15
	;; [unrolled: 1-line block ×3, first 2 shown]
	s_waitcnt lgkmcnt(0)
	s_barrier
	s_branch .LBB34_22
.LBB34_21:
                                        ; implicit-def: $vgpr2
                                        ; implicit-def: $vgpr1
.LBB34_22:
	v_add_co_u32 v14, s12, s20, v12
	s_delay_alu instid0(VALU_DEP_1) | instskip(SKIP_1) | instid1(VALU_DEP_1)
	v_add_co_ci_u32_e64 v15, null, s21, 0, s12
	v_add_co_u32 v12, s12, s22, v13
	v_add_co_ci_u32_e64 v13, null, s23, 0, s12
	s_and_b32 vcc_lo, exec_lo, s13
	s_cbranch_vccz .LBB34_84
; %bb.23:
	s_and_saveexec_b32 s12, s11
	s_cbranch_execz .LBB34_32
; %bb.24:
	v_dual_mov_b32 v2, 0 :: v_dual_lshlrev_b32 v1, 3, v0
	v_cmp_gt_u32_e32 vcc_lo, 0x2ca, v0
	s_delay_alu instid0(VALU_DEP_2)
	v_sub_nc_u32_e32 v3, v16, v1
	ds_store_b32 v3, v2
	s_and_b32 exec_lo, exec_lo, vcc_lo
	s_cbranch_execz .LBB34_32
; %bb.25:
	v_sub_nc_u32_e32 v1, 0, v1
	v_cmp_gt_u32_e32 vcc_lo, 0x264, v0
	s_delay_alu instid0(VALU_DEP_2)
	v_add_nc_u32_e32 v1, v16, v1
	ds_store_b32 v1, v2 offset:408
	s_and_b32 exec_lo, exec_lo, vcc_lo
	s_cbranch_execz .LBB34_32
; %bb.26:
	v_mov_b32_e32 v2, 0
	v_cmp_gt_u32_e32 vcc_lo, 0x1fe, v0
	ds_store_b32 v1, v2 offset:816
	s_and_b32 exec_lo, exec_lo, vcc_lo
	s_cbranch_execz .LBB34_32
; %bb.27:
	v_cmp_gt_u32_e32 vcc_lo, 0x198, v0
	ds_store_b32 v1, v2 offset:1224
	s_and_b32 exec_lo, exec_lo, vcc_lo
	s_cbranch_execz .LBB34_32
; %bb.28:
	v_mov_b32_e32 v2, 0
	v_cmp_gt_u32_e32 vcc_lo, 0x132, v0
	ds_store_b32 v1, v2 offset:1632
	s_and_b32 exec_lo, exec_lo, vcc_lo
	s_cbranch_execz .LBB34_32
; %bb.29:
	v_cmp_gt_u32_e32 vcc_lo, 0xcc, v0
	ds_store_b32 v1, v2 offset:2040
	s_and_b32 exec_lo, exec_lo, vcc_lo
	s_cbranch_execz .LBB34_32
; %bb.30:
	v_mov_b32_e32 v2, 0
	v_cmp_gt_u32_e32 vcc_lo, 0x66, v0
	ds_store_b32 v1, v2 offset:2448
	s_and_b32 exec_lo, exec_lo, vcc_lo
	s_cbranch_execz .LBB34_32
; %bb.31:
	ds_store_b32 v1, v2 offset:2856
.LBB34_32:
	s_or_b32 exec_lo, exec_lo, s12
	v_and_b32_e32 v1, 7, v24
	v_lshrrev_b32_e32 v2, 2, v24
	s_delay_alu instid0(VALU_DEP_2) | instskip(NEXT) | instid1(VALU_DEP_2)
	v_mad_u32_u24 v1, 0x66, v1, v0
	v_and_b32_e32 v2, 2, v2
	s_delay_alu instid0(VALU_DEP_1)
	v_lshl_or_b32 v26, v1, 2, v2
	v_bfe_u32 v1, v24, 16, 3
	v_lshrrev_b32_e32 v2, 18, v24
	ds_load_u16 v25, v26
	v_mad_u32_u24 v1, 0x66, v1, v0
	v_and_b32_e32 v2, 2, v2
	s_delay_alu instid0(VALU_DEP_1) | instskip(SKIP_1) | instid1(VALU_DEP_1)
	v_lshl_or_b32 v28, v1, 2, v2
	v_and_b32_e32 v1, 0xffff, v23
	v_and_b32_e32 v2, 7, v1
	v_lshrrev_b32_e32 v1, 2, v1
	s_delay_alu instid0(VALU_DEP_2) | instskip(NEXT) | instid1(VALU_DEP_2)
	v_mad_u32_u24 v2, 0x66, v2, v0
	v_and_b32_e32 v1, 2, v1
	s_waitcnt lgkmcnt(0)
	v_add_nc_u16 v3, v25, 1
	s_delay_alu instid0(VALU_DEP_2)
	v_lshl_or_b32 v30, v2, 2, v1
	ds_store_b16 v26, v3
	ds_load_u16 v27, v28
	s_waitcnt lgkmcnt(0)
	v_add_nc_u16 v3, v27, 1
	ds_store_b16 v28, v3
	ds_load_u16 v29, v30
	s_waitcnt lgkmcnt(0)
	v_add_nc_u16 v1, v29, 1
	ds_store_b16 v30, v1
	s_waitcnt vmcnt(0) lgkmcnt(0)
	s_barrier
	buffer_gl0_inv
	ds_load_2addr_b64 v[5:8], v17 offset1:1
	ds_load_2addr_b64 v[1:4], v17 offset0:2 offset1:3
	s_waitcnt lgkmcnt(1)
	v_add_nc_u32_e32 v31, v6, v5
	s_delay_alu instid0(VALU_DEP_1) | instskip(SKIP_1) | instid1(VALU_DEP_1)
	v_add3_u32 v31, v31, v7, v8
	s_waitcnt lgkmcnt(0)
	v_add3_u32 v31, v31, v1, v2
	s_delay_alu instid0(VALU_DEP_1) | instskip(NEXT) | instid1(VALU_DEP_1)
	v_add3_u32 v4, v31, v3, v4
	v_mov_b32_dpp v31, v4 row_shr:1 row_mask:0xf bank_mask:0xf
	s_delay_alu instid0(VALU_DEP_1) | instskip(NEXT) | instid1(VALU_DEP_1)
	v_cndmask_b32_e64 v31, v31, 0, s9
	v_add_nc_u32_e32 v4, v31, v4
	s_delay_alu instid0(VALU_DEP_1) | instskip(NEXT) | instid1(VALU_DEP_1)
	v_mov_b32_dpp v31, v4 row_shr:2 row_mask:0xf bank_mask:0xf
	v_cndmask_b32_e64 v31, 0, v31, s8
	s_delay_alu instid0(VALU_DEP_1) | instskip(NEXT) | instid1(VALU_DEP_1)
	v_add_nc_u32_e32 v4, v4, v31
	v_mov_b32_dpp v31, v4 row_shr:4 row_mask:0xf bank_mask:0xf
	s_delay_alu instid0(VALU_DEP_1) | instskip(NEXT) | instid1(VALU_DEP_1)
	v_cndmask_b32_e64 v31, 0, v31, s7
	v_add_nc_u32_e32 v4, v4, v31
	s_delay_alu instid0(VALU_DEP_1) | instskip(NEXT) | instid1(VALU_DEP_1)
	v_mov_b32_dpp v31, v4 row_shr:8 row_mask:0xf bank_mask:0xf
	v_cndmask_b32_e64 v31, 0, v31, s6
	s_delay_alu instid0(VALU_DEP_1) | instskip(SKIP_3) | instid1(VALU_DEP_1)
	v_add_nc_u32_e32 v4, v4, v31
	ds_swizzle_b32 v31, v4 offset:swizzle(BROADCAST,32,15)
	s_waitcnt lgkmcnt(0)
	v_cndmask_b32_e64 v31, v31, 0, s5
	v_add_nc_u32_e32 v31, v4, v31
	s_and_saveexec_b32 s12, s10
	s_cbranch_execz .LBB34_34
; %bb.33:
	ds_store_b32 v20, v31 offset:3264
.LBB34_34:
	s_or_b32 exec_lo, exec_lo, s12
	s_waitcnt lgkmcnt(0)
	s_barrier
	buffer_gl0_inv
	s_and_saveexec_b32 s12, s2
	s_cbranch_execz .LBB34_36
; %bb.35:
	ds_load_b32 v4, v21 offset:3264
	s_waitcnt lgkmcnt(0)
	v_mov_b32_dpp v32, v4 row_shr:1 row_mask:0xf bank_mask:0xf
	s_delay_alu instid0(VALU_DEP_1) | instskip(NEXT) | instid1(VALU_DEP_1)
	v_cndmask_b32_e64 v32, v32, 0, s4
	v_add_nc_u32_e32 v4, v32, v4
	s_delay_alu instid0(VALU_DEP_1) | instskip(NEXT) | instid1(VALU_DEP_1)
	v_mov_b32_dpp v32, v4 row_shr:2 row_mask:0xf bank_mask:0xf
	v_cndmask_b32_e64 v32, 0, v32, s3
	s_delay_alu instid0(VALU_DEP_1)
	v_add_nc_u32_e32 v4, v4, v32
	ds_store_b32 v21, v4 offset:3264
.LBB34_36:
	s_or_b32 exec_lo, exec_lo, s12
	v_lshrrev_b32_e32 v4, 16, v24
	v_dual_mov_b32 v32, 0 :: v_dual_mov_b32 v33, 0
	s_waitcnt lgkmcnt(0)
	s_barrier
	buffer_gl0_inv
	s_and_saveexec_b32 s12, s1
	s_cbranch_execz .LBB34_38
; %bb.37:
	ds_load_b32 v33, v20 offset:3260
.LBB34_38:
	s_or_b32 exec_lo, exec_lo, s12
	s_waitcnt lgkmcnt(0)
	v_add_nc_u32_e32 v31, v33, v31
	ds_load_b32 v32, v32 offset:3276
	ds_bpermute_b32 v31, v19, v31
	s_waitcnt lgkmcnt(0)
	v_cndmask_b32_e64 v31, v31, v33, s0
	s_delay_alu instid0(VALU_DEP_1) | instskip(NEXT) | instid1(VALU_DEP_1)
	v_lshl_add_u32 v31, v32, 16, v31
	v_add_nc_u32_e32 v32, v31, v5
	s_delay_alu instid0(VALU_DEP_1) | instskip(NEXT) | instid1(VALU_DEP_1)
	v_add_nc_u32_e32 v5, v32, v6
	v_add_nc_u32_e32 v6, v5, v7
	s_delay_alu instid0(VALU_DEP_1) | instskip(NEXT) | instid1(VALU_DEP_1)
	v_add_nc_u32_e32 v7, v6, v8
	;; [unrolled: 3-line block ×3, first 2 shown]
	v_add_nc_u32_e32 v2, v1, v3
	ds_store_2addr_b64 v17, v[31:32], v[5:6] offset1:1
	ds_store_2addr_b64 v17, v[7:8], v[1:2] offset0:2 offset1:3
	s_waitcnt lgkmcnt(0)
	s_barrier
	buffer_gl0_inv
	ds_load_u16 v1, v26
	ds_load_u16 v2, v28
	;; [unrolled: 1-line block ×3, first 2 shown]
	v_and_b32_e32 v5, 0xffff, v25
	v_and_b32_e32 v6, 0xffff, v27
	;; [unrolled: 1-line block ×3, first 2 shown]
	s_waitcnt lgkmcnt(0)
	s_barrier
	buffer_gl0_inv
	v_add_lshl_u32 v1, v1, v5, 1
	v_add_lshl_u32 v2, v2, v6, 1
	;; [unrolled: 1-line block ×3, first 2 shown]
	ds_store_b16 v1, v24
	ds_store_b16 v2, v4
	;; [unrolled: 1-line block ×3, first 2 shown]
	v_add_nc_u32_e32 v1, v1, v1
	v_add_nc_u32_e32 v2, v2, v2
	;; [unrolled: 1-line block ×3, first 2 shown]
	s_waitcnt lgkmcnt(0)
	s_barrier
	buffer_gl0_inv
	ds_load_u16 v23, v18
	ds_load_u16 v24, v18 offset:2
	ds_load_u16 v25, v18 offset:4
	s_waitcnt lgkmcnt(0)
	s_barrier
	buffer_gl0_inv
	ds_store_b32 v1, v9
	ds_store_b32 v2, v10
	;; [unrolled: 1-line block ×3, first 2 shown]
	s_waitcnt lgkmcnt(0)
	s_barrier
	buffer_gl0_inv
	ds_load_2addr_b32 v[9:10], v16 offset1:1
	ds_load_b32 v11, v16 offset:8
	s_waitcnt lgkmcnt(0)
	s_barrier
	buffer_gl0_inv
	s_and_saveexec_b32 s12, s11
	s_cbranch_execz .LBB34_47
; %bb.39:
	v_mov_b32_e32 v1, 0
	v_cmp_gt_u32_e32 vcc_lo, 0x2ca, v0
	ds_store_b32 v22, v1
	s_and_b32 exec_lo, exec_lo, vcc_lo
	s_cbranch_execz .LBB34_47
; %bb.40:
	v_cmp_gt_u32_e32 vcc_lo, 0x264, v0
	ds_store_b32 v22, v1 offset:408
	s_and_b32 exec_lo, exec_lo, vcc_lo
	s_cbranch_execz .LBB34_47
; %bb.41:
	v_mov_b32_e32 v1, 0
	v_cmp_gt_u32_e32 vcc_lo, 0x1fe, v0
	ds_store_b32 v22, v1 offset:816
	s_and_b32 exec_lo, exec_lo, vcc_lo
	s_cbranch_execz .LBB34_47
; %bb.42:
	v_cmp_gt_u32_e32 vcc_lo, 0x198, v0
	ds_store_b32 v22, v1 offset:1224
	s_and_b32 exec_lo, exec_lo, vcc_lo
	s_cbranch_execz .LBB34_47
; %bb.43:
	v_mov_b32_e32 v1, 0
	v_cmp_gt_u32_e32 vcc_lo, 0x132, v0
	ds_store_b32 v22, v1 offset:1632
	;; [unrolled: 11-line block ×3, first 2 shown]
	s_and_b32 exec_lo, exec_lo, vcc_lo
	s_cbranch_execz .LBB34_47
; %bb.46:
	ds_store_b32 v22, v1 offset:2856
.LBB34_47:
	s_or_b32 exec_lo, exec_lo, s12
	v_lshrrev_b16 v1, 4, v23
	s_delay_alu instid0(VALU_DEP_1) | instskip(NEXT) | instid1(VALU_DEP_1)
	v_and_b32_e32 v1, 0xffff, v1
	v_and_b32_e32 v2, 7, v1
	v_lshrrev_b32_e32 v1, 2, v1
	s_delay_alu instid0(VALU_DEP_2) | instskip(NEXT) | instid1(VALU_DEP_2)
	v_mad_u32_u24 v2, 0x66, v2, v0
	v_and_b32_e32 v1, 2, v1
	s_delay_alu instid0(VALU_DEP_1) | instskip(SKIP_3) | instid1(VALU_DEP_1)
	v_lshl_or_b32 v26, v2, 2, v1
	v_lshrrev_b16 v1, 4, v24
	ds_load_u16 v27, v26
	v_and_b32_e32 v1, 0xffff, v1
	v_and_b32_e32 v2, 7, v1
	v_lshrrev_b32_e32 v1, 2, v1
	s_delay_alu instid0(VALU_DEP_2) | instskip(NEXT) | instid1(VALU_DEP_2)
	v_mad_u32_u24 v2, 0x66, v2, v0
	v_and_b32_e32 v1, 2, v1
	s_delay_alu instid0(VALU_DEP_1) | instskip(SKIP_3) | instid1(VALU_DEP_2)
	v_lshl_or_b32 v28, v2, 2, v1
	v_lshrrev_b16 v1, 4, v25
	s_waitcnt lgkmcnt(0)
	v_add_nc_u16 v3, v27, 1
	v_and_b32_e32 v1, 0xffff, v1
	ds_store_b16 v26, v3
	ds_load_u16 v29, v28
	v_and_b32_e32 v2, 7, v1
	v_lshrrev_b32_e32 v1, 2, v1
	s_delay_alu instid0(VALU_DEP_2) | instskip(NEXT) | instid1(VALU_DEP_2)
	v_mad_u32_u24 v2, 0x66, v2, v0
	v_and_b32_e32 v1, 2, v1
	s_delay_alu instid0(VALU_DEP_1)
	v_lshl_or_b32 v31, v2, 2, v1
	s_waitcnt lgkmcnt(0)
	v_add_nc_u16 v3, v29, 1
	ds_store_b16 v28, v3
	ds_load_u16 v30, v31
	s_waitcnt lgkmcnt(0)
	v_add_nc_u16 v1, v30, 1
	ds_store_b16 v31, v1
	s_waitcnt lgkmcnt(0)
	s_barrier
	buffer_gl0_inv
	ds_load_2addr_b64 v[5:8], v17 offset1:1
	ds_load_2addr_b64 v[1:4], v17 offset0:2 offset1:3
	s_waitcnt lgkmcnt(1)
	v_add_nc_u32_e32 v32, v6, v5
	s_delay_alu instid0(VALU_DEP_1) | instskip(SKIP_1) | instid1(VALU_DEP_1)
	v_add3_u32 v32, v32, v7, v8
	s_waitcnt lgkmcnt(0)
	v_add3_u32 v32, v32, v1, v2
	s_delay_alu instid0(VALU_DEP_1) | instskip(NEXT) | instid1(VALU_DEP_1)
	v_add3_u32 v4, v32, v3, v4
	v_mov_b32_dpp v32, v4 row_shr:1 row_mask:0xf bank_mask:0xf
	s_delay_alu instid0(VALU_DEP_1) | instskip(NEXT) | instid1(VALU_DEP_1)
	v_cndmask_b32_e64 v32, v32, 0, s9
	v_add_nc_u32_e32 v4, v32, v4
	s_delay_alu instid0(VALU_DEP_1) | instskip(NEXT) | instid1(VALU_DEP_1)
	v_mov_b32_dpp v32, v4 row_shr:2 row_mask:0xf bank_mask:0xf
	v_cndmask_b32_e64 v32, 0, v32, s8
	s_delay_alu instid0(VALU_DEP_1) | instskip(NEXT) | instid1(VALU_DEP_1)
	v_add_nc_u32_e32 v4, v4, v32
	v_mov_b32_dpp v32, v4 row_shr:4 row_mask:0xf bank_mask:0xf
	s_delay_alu instid0(VALU_DEP_1) | instskip(NEXT) | instid1(VALU_DEP_1)
	v_cndmask_b32_e64 v32, 0, v32, s7
	v_add_nc_u32_e32 v4, v4, v32
	s_delay_alu instid0(VALU_DEP_1) | instskip(NEXT) | instid1(VALU_DEP_1)
	v_mov_b32_dpp v32, v4 row_shr:8 row_mask:0xf bank_mask:0xf
	v_cndmask_b32_e64 v32, 0, v32, s6
	s_delay_alu instid0(VALU_DEP_1) | instskip(SKIP_3) | instid1(VALU_DEP_1)
	v_add_nc_u32_e32 v4, v4, v32
	ds_swizzle_b32 v32, v4 offset:swizzle(BROADCAST,32,15)
	s_waitcnt lgkmcnt(0)
	v_cndmask_b32_e64 v32, v32, 0, s5
	v_add_nc_u32_e32 v4, v4, v32
	s_and_saveexec_b32 s12, s10
	s_cbranch_execz .LBB34_49
; %bb.48:
	ds_store_b32 v20, v4 offset:3264
.LBB34_49:
	s_or_b32 exec_lo, exec_lo, s12
	s_waitcnt lgkmcnt(0)
	s_barrier
	buffer_gl0_inv
	s_and_saveexec_b32 s12, s2
	s_cbranch_execz .LBB34_51
; %bb.50:
	ds_load_b32 v32, v21 offset:3264
	s_waitcnt lgkmcnt(0)
	v_mov_b32_dpp v33, v32 row_shr:1 row_mask:0xf bank_mask:0xf
	s_delay_alu instid0(VALU_DEP_1) | instskip(NEXT) | instid1(VALU_DEP_1)
	v_cndmask_b32_e64 v33, v33, 0, s4
	v_add_nc_u32_e32 v32, v33, v32
	s_delay_alu instid0(VALU_DEP_1) | instskip(NEXT) | instid1(VALU_DEP_1)
	v_mov_b32_dpp v33, v32 row_shr:2 row_mask:0xf bank_mask:0xf
	v_cndmask_b32_e64 v33, 0, v33, s3
	s_delay_alu instid0(VALU_DEP_1)
	v_add_nc_u32_e32 v32, v32, v33
	ds_store_b32 v21, v32 offset:3264
.LBB34_51:
	s_or_b32 exec_lo, exec_lo, s12
	v_dual_mov_b32 v32, 0 :: v_dual_mov_b32 v33, 0
	s_waitcnt lgkmcnt(0)
	s_barrier
	buffer_gl0_inv
	s_and_saveexec_b32 s12, s1
	s_cbranch_execz .LBB34_53
; %bb.52:
	ds_load_b32 v33, v20 offset:3260
.LBB34_53:
	s_or_b32 exec_lo, exec_lo, s12
	s_waitcnt lgkmcnt(0)
	v_add_nc_u32_e32 v4, v33, v4
	ds_load_b32 v32, v32 offset:3276
	ds_bpermute_b32 v4, v19, v4
	s_waitcnt lgkmcnt(0)
	v_cndmask_b32_e64 v4, v4, v33, s0
	s_delay_alu instid0(VALU_DEP_1) | instskip(NEXT) | instid1(VALU_DEP_1)
	v_lshl_add_u32 v4, v32, 16, v4
	v_add_nc_u32_e32 v5, v4, v5
	s_delay_alu instid0(VALU_DEP_1) | instskip(NEXT) | instid1(VALU_DEP_1)
	v_add_nc_u32_e32 v6, v5, v6
	v_add_nc_u32_e32 v7, v6, v7
	s_delay_alu instid0(VALU_DEP_1) | instskip(NEXT) | instid1(VALU_DEP_1)
	v_add_nc_u32_e32 v32, v7, v8
	;; [unrolled: 3-line block ×3, first 2 shown]
	v_add_nc_u32_e32 v2, v1, v3
	ds_store_2addr_b64 v17, v[4:5], v[6:7] offset1:1
	ds_store_2addr_b64 v17, v[32:33], v[1:2] offset0:2 offset1:3
	s_waitcnt lgkmcnt(0)
	s_barrier
	buffer_gl0_inv
	ds_load_u16 v1, v26
	ds_load_u16 v2, v28
	;; [unrolled: 1-line block ×3, first 2 shown]
	v_and_b32_e32 v4, 0xffff, v27
	v_and_b32_e32 v5, 0xffff, v29
	;; [unrolled: 1-line block ×3, first 2 shown]
	s_waitcnt lgkmcnt(0)
	s_barrier
	buffer_gl0_inv
	v_add_lshl_u32 v1, v1, v4, 1
	v_add_lshl_u32 v2, v2, v5, 1
	;; [unrolled: 1-line block ×3, first 2 shown]
	ds_store_b16 v1, v23
	ds_store_b16 v2, v24
	;; [unrolled: 1-line block ×3, first 2 shown]
	v_add_nc_u32_e32 v1, v1, v1
	v_add_nc_u32_e32 v2, v2, v2
	;; [unrolled: 1-line block ×3, first 2 shown]
	s_waitcnt lgkmcnt(0)
	s_barrier
	buffer_gl0_inv
	ds_load_u16 v23, v18
	ds_load_u16 v24, v18 offset:2
	ds_load_u16 v26, v18 offset:4
	s_waitcnt lgkmcnt(0)
	s_barrier
	buffer_gl0_inv
	ds_store_b32 v1, v9
	ds_store_b32 v2, v10
	;; [unrolled: 1-line block ×3, first 2 shown]
	s_waitcnt lgkmcnt(0)
	s_barrier
	buffer_gl0_inv
	ds_load_2addr_b32 v[9:10], v16 offset1:1
	ds_load_b32 v25, v16 offset:8
	s_waitcnt lgkmcnt(0)
	s_barrier
	buffer_gl0_inv
	s_and_saveexec_b32 s12, s11
	s_cbranch_execz .LBB34_62
; %bb.54:
	v_mov_b32_e32 v1, 0
	v_cmp_gt_u32_e32 vcc_lo, 0x2ca, v0
	ds_store_b32 v22, v1
	s_and_b32 exec_lo, exec_lo, vcc_lo
	s_cbranch_execz .LBB34_62
; %bb.55:
	v_cmp_gt_u32_e32 vcc_lo, 0x264, v0
	ds_store_b32 v22, v1 offset:408
	s_and_b32 exec_lo, exec_lo, vcc_lo
	s_cbranch_execz .LBB34_62
; %bb.56:
	v_mov_b32_e32 v1, 0
	v_cmp_gt_u32_e32 vcc_lo, 0x1fe, v0
	ds_store_b32 v22, v1 offset:816
	s_and_b32 exec_lo, exec_lo, vcc_lo
	s_cbranch_execz .LBB34_62
; %bb.57:
	v_cmp_gt_u32_e32 vcc_lo, 0x198, v0
	ds_store_b32 v22, v1 offset:1224
	s_and_b32 exec_lo, exec_lo, vcc_lo
	s_cbranch_execz .LBB34_62
; %bb.58:
	v_mov_b32_e32 v1, 0
	v_cmp_gt_u32_e32 vcc_lo, 0x132, v0
	ds_store_b32 v22, v1 offset:1632
	;; [unrolled: 11-line block ×3, first 2 shown]
	s_and_b32 exec_lo, exec_lo, vcc_lo
	s_cbranch_execz .LBB34_62
; %bb.61:
	ds_store_b32 v22, v1 offset:2856
.LBB34_62:
	s_or_b32 exec_lo, exec_lo, s12
	v_lshrrev_b16 v1, 8, v23
	s_delay_alu instid0(VALU_DEP_1) | instskip(NEXT) | instid1(VALU_DEP_1)
	v_and_b32_e32 v1, 0xffff, v1
	v_and_b32_e32 v2, 7, v1
	v_lshrrev_b32_e32 v1, 2, v1
	s_delay_alu instid0(VALU_DEP_2) | instskip(NEXT) | instid1(VALU_DEP_2)
	v_mad_u32_u24 v2, 0x66, v2, v0
	v_and_b32_e32 v1, 2, v1
	s_delay_alu instid0(VALU_DEP_1) | instskip(SKIP_3) | instid1(VALU_DEP_1)
	v_lshl_or_b32 v11, v2, 2, v1
	v_lshrrev_b16 v1, 8, v24
	ds_load_u16 v27, v11
	v_and_b32_e32 v1, 0xffff, v1
	v_and_b32_e32 v2, 7, v1
	v_lshrrev_b32_e32 v1, 2, v1
	s_delay_alu instid0(VALU_DEP_2) | instskip(NEXT) | instid1(VALU_DEP_2)
	v_mad_u32_u24 v2, 0x66, v2, v0
	v_and_b32_e32 v1, 2, v1
	s_delay_alu instid0(VALU_DEP_1) | instskip(SKIP_3) | instid1(VALU_DEP_2)
	v_lshl_or_b32 v28, v2, 2, v1
	v_lshrrev_b16 v1, 8, v26
	s_waitcnt lgkmcnt(0)
	v_add_nc_u16 v3, v27, 1
	v_and_b32_e32 v1, 0xffff, v1
	ds_store_b16 v11, v3
	ds_load_u16 v29, v28
	v_and_b32_e32 v2, 7, v1
	v_lshrrev_b32_e32 v1, 2, v1
	s_delay_alu instid0(VALU_DEP_2) | instskip(NEXT) | instid1(VALU_DEP_2)
	v_mad_u32_u24 v2, 0x66, v2, v0
	v_and_b32_e32 v1, 2, v1
	s_delay_alu instid0(VALU_DEP_1)
	v_lshl_or_b32 v31, v2, 2, v1
	s_waitcnt lgkmcnt(0)
	v_add_nc_u16 v3, v29, 1
	ds_store_b16 v28, v3
	ds_load_u16 v30, v31
	s_waitcnt lgkmcnt(0)
	v_add_nc_u16 v1, v30, 1
	ds_store_b16 v31, v1
	s_waitcnt lgkmcnt(0)
	s_barrier
	buffer_gl0_inv
	ds_load_2addr_b64 v[5:8], v17 offset1:1
	ds_load_2addr_b64 v[1:4], v17 offset0:2 offset1:3
	s_waitcnt lgkmcnt(1)
	v_add_nc_u32_e32 v32, v6, v5
	s_delay_alu instid0(VALU_DEP_1) | instskip(SKIP_1) | instid1(VALU_DEP_1)
	v_add3_u32 v32, v32, v7, v8
	s_waitcnt lgkmcnt(0)
	v_add3_u32 v32, v32, v1, v2
	s_delay_alu instid0(VALU_DEP_1) | instskip(NEXT) | instid1(VALU_DEP_1)
	v_add3_u32 v4, v32, v3, v4
	v_mov_b32_dpp v32, v4 row_shr:1 row_mask:0xf bank_mask:0xf
	s_delay_alu instid0(VALU_DEP_1) | instskip(NEXT) | instid1(VALU_DEP_1)
	v_cndmask_b32_e64 v32, v32, 0, s9
	v_add_nc_u32_e32 v4, v32, v4
	s_delay_alu instid0(VALU_DEP_1) | instskip(NEXT) | instid1(VALU_DEP_1)
	v_mov_b32_dpp v32, v4 row_shr:2 row_mask:0xf bank_mask:0xf
	v_cndmask_b32_e64 v32, 0, v32, s8
	s_delay_alu instid0(VALU_DEP_1) | instskip(NEXT) | instid1(VALU_DEP_1)
	v_add_nc_u32_e32 v4, v4, v32
	v_mov_b32_dpp v32, v4 row_shr:4 row_mask:0xf bank_mask:0xf
	s_delay_alu instid0(VALU_DEP_1) | instskip(NEXT) | instid1(VALU_DEP_1)
	v_cndmask_b32_e64 v32, 0, v32, s7
	v_add_nc_u32_e32 v4, v4, v32
	s_delay_alu instid0(VALU_DEP_1) | instskip(NEXT) | instid1(VALU_DEP_1)
	v_mov_b32_dpp v32, v4 row_shr:8 row_mask:0xf bank_mask:0xf
	v_cndmask_b32_e64 v32, 0, v32, s6
	s_delay_alu instid0(VALU_DEP_1) | instskip(SKIP_3) | instid1(VALU_DEP_1)
	v_add_nc_u32_e32 v4, v4, v32
	ds_swizzle_b32 v32, v4 offset:swizzle(BROADCAST,32,15)
	s_waitcnt lgkmcnt(0)
	v_cndmask_b32_e64 v32, v32, 0, s5
	v_add_nc_u32_e32 v4, v4, v32
	s_and_saveexec_b32 s12, s10
	s_cbranch_execz .LBB34_64
; %bb.63:
	ds_store_b32 v20, v4 offset:3264
.LBB34_64:
	s_or_b32 exec_lo, exec_lo, s12
	s_waitcnt lgkmcnt(0)
	s_barrier
	buffer_gl0_inv
	s_and_saveexec_b32 s12, s2
	s_cbranch_execz .LBB34_66
; %bb.65:
	ds_load_b32 v32, v21 offset:3264
	s_waitcnt lgkmcnt(0)
	v_mov_b32_dpp v33, v32 row_shr:1 row_mask:0xf bank_mask:0xf
	s_delay_alu instid0(VALU_DEP_1) | instskip(NEXT) | instid1(VALU_DEP_1)
	v_cndmask_b32_e64 v33, v33, 0, s4
	v_add_nc_u32_e32 v32, v33, v32
	s_delay_alu instid0(VALU_DEP_1) | instskip(NEXT) | instid1(VALU_DEP_1)
	v_mov_b32_dpp v33, v32 row_shr:2 row_mask:0xf bank_mask:0xf
	v_cndmask_b32_e64 v33, 0, v33, s3
	s_delay_alu instid0(VALU_DEP_1)
	v_add_nc_u32_e32 v32, v32, v33
	ds_store_b32 v21, v32 offset:3264
.LBB34_66:
	s_or_b32 exec_lo, exec_lo, s12
	v_dual_mov_b32 v32, 0 :: v_dual_mov_b32 v33, 0
	s_waitcnt lgkmcnt(0)
	s_barrier
	buffer_gl0_inv
	s_and_saveexec_b32 s12, s1
	s_cbranch_execz .LBB34_68
; %bb.67:
	ds_load_b32 v33, v20 offset:3260
.LBB34_68:
	s_or_b32 exec_lo, exec_lo, s12
	s_waitcnt lgkmcnt(0)
	v_add_nc_u32_e32 v4, v33, v4
	ds_load_b32 v32, v32 offset:3276
	ds_bpermute_b32 v4, v19, v4
	s_waitcnt lgkmcnt(0)
	v_cndmask_b32_e64 v4, v4, v33, s0
	s_delay_alu instid0(VALU_DEP_1) | instskip(NEXT) | instid1(VALU_DEP_1)
	v_lshl_add_u32 v4, v32, 16, v4
	v_add_nc_u32_e32 v5, v4, v5
	s_delay_alu instid0(VALU_DEP_1) | instskip(NEXT) | instid1(VALU_DEP_1)
	v_add_nc_u32_e32 v6, v5, v6
	v_add_nc_u32_e32 v7, v6, v7
	s_delay_alu instid0(VALU_DEP_1) | instskip(NEXT) | instid1(VALU_DEP_1)
	v_add_nc_u32_e32 v32, v7, v8
	;; [unrolled: 3-line block ×3, first 2 shown]
	v_add_nc_u32_e32 v2, v1, v3
	ds_store_2addr_b64 v17, v[4:5], v[6:7] offset1:1
	ds_store_2addr_b64 v17, v[32:33], v[1:2] offset0:2 offset1:3
	s_waitcnt lgkmcnt(0)
	s_barrier
	buffer_gl0_inv
	ds_load_u16 v1, v11
	ds_load_u16 v2, v28
	ds_load_u16 v3, v31
	v_and_b32_e32 v4, 0xffff, v27
	v_and_b32_e32 v5, 0xffff, v29
	;; [unrolled: 1-line block ×3, first 2 shown]
	s_waitcnt lgkmcnt(0)
	s_barrier
	buffer_gl0_inv
	v_add_lshl_u32 v1, v1, v4, 1
	v_add_lshl_u32 v2, v2, v5, 1
	;; [unrolled: 1-line block ×3, first 2 shown]
	ds_store_b16 v1, v23
	ds_store_b16 v2, v24
	;; [unrolled: 1-line block ×3, first 2 shown]
	v_add_nc_u32_e32 v1, v1, v1
	v_add_nc_u32_e32 v2, v2, v2
	;; [unrolled: 1-line block ×3, first 2 shown]
	s_waitcnt lgkmcnt(0)
	s_barrier
	buffer_gl0_inv
	ds_load_u16 v11, v18
	ds_load_u16 v23, v18 offset:2
	ds_load_u16 v24, v18 offset:4
	s_waitcnt lgkmcnt(0)
	s_barrier
	buffer_gl0_inv
	ds_store_b32 v1, v9
	ds_store_b32 v2, v10
	;; [unrolled: 1-line block ×3, first 2 shown]
	s_waitcnt lgkmcnt(0)
	s_barrier
	buffer_gl0_inv
	ds_load_2addr_b32 v[8:9], v16 offset1:1
	ds_load_b32 v10, v16 offset:8
	s_waitcnt lgkmcnt(0)
	s_barrier
	buffer_gl0_inv
	s_and_saveexec_b32 s12, s11
	s_cbranch_execz .LBB34_77
; %bb.69:
	v_mov_b32_e32 v1, 0
	v_cmp_gt_u32_e32 vcc_lo, 0x2ca, v0
	ds_store_b32 v22, v1
	s_and_b32 exec_lo, exec_lo, vcc_lo
	s_cbranch_execz .LBB34_77
; %bb.70:
	v_cmp_gt_u32_e32 vcc_lo, 0x264, v0
	ds_store_b32 v22, v1 offset:408
	s_and_b32 exec_lo, exec_lo, vcc_lo
	s_cbranch_execz .LBB34_77
; %bb.71:
	v_mov_b32_e32 v1, 0
	v_cmp_gt_u32_e32 vcc_lo, 0x1fe, v0
	ds_store_b32 v22, v1 offset:816
	s_and_b32 exec_lo, exec_lo, vcc_lo
	s_cbranch_execz .LBB34_77
; %bb.72:
	v_cmp_gt_u32_e32 vcc_lo, 0x198, v0
	ds_store_b32 v22, v1 offset:1224
	s_and_b32 exec_lo, exec_lo, vcc_lo
	s_cbranch_execz .LBB34_77
; %bb.73:
	v_mov_b32_e32 v1, 0
	v_cmp_gt_u32_e32 vcc_lo, 0x132, v0
	ds_store_b32 v22, v1 offset:1632
	;; [unrolled: 11-line block ×3, first 2 shown]
	s_and_b32 exec_lo, exec_lo, vcc_lo
	s_cbranch_execz .LBB34_77
; %bb.76:
	ds_store_b32 v22, v1 offset:2856
.LBB34_77:
	s_or_b32 exec_lo, exec_lo, s12
	v_lshrrev_b16 v1, 12, v11
	s_delay_alu instid0(VALU_DEP_1) | instskip(NEXT) | instid1(VALU_DEP_1)
	v_and_b32_e32 v1, 0xffff, v1
	v_and_b32_e32 v2, 7, v1
	v_lshrrev_b32_e32 v1, 2, v1
	s_delay_alu instid0(VALU_DEP_2) | instskip(NEXT) | instid1(VALU_DEP_2)
	v_mad_u32_u24 v2, 0x66, v2, v0
	v_and_b32_e32 v1, 2, v1
	s_delay_alu instid0(VALU_DEP_1) | instskip(SKIP_3) | instid1(VALU_DEP_1)
	v_lshl_or_b32 v22, v2, 2, v1
	v_lshrrev_b16 v1, 12, v23
	ds_load_u16 v25, v22
	v_and_b32_e32 v1, 0xffff, v1
	v_and_b32_e32 v2, 7, v1
	v_lshrrev_b32_e32 v1, 2, v1
	s_delay_alu instid0(VALU_DEP_2) | instskip(NEXT) | instid1(VALU_DEP_2)
	v_mad_u32_u24 v2, 0x66, v2, v0
	v_and_b32_e32 v1, 2, v1
	s_delay_alu instid0(VALU_DEP_1) | instskip(SKIP_3) | instid1(VALU_DEP_2)
	v_lshl_or_b32 v26, v2, 2, v1
	v_lshrrev_b16 v1, 12, v24
	s_waitcnt lgkmcnt(0)
	v_add_nc_u16 v3, v25, 1
	v_and_b32_e32 v1, 0xffff, v1
	ds_store_b16 v22, v3
	ds_load_u16 v27, v26
	v_and_b32_e32 v2, 7, v1
	v_lshrrev_b32_e32 v1, 2, v1
	s_delay_alu instid0(VALU_DEP_2) | instskip(NEXT) | instid1(VALU_DEP_2)
	v_mad_u32_u24 v0, 0x66, v2, v0
	v_and_b32_e32 v1, 2, v1
	s_delay_alu instid0(VALU_DEP_1)
	v_lshl_or_b32 v29, v0, 2, v1
	s_waitcnt lgkmcnt(0)
	v_add_nc_u16 v2, v27, 1
	ds_store_b16 v26, v2
	ds_load_u16 v28, v29
	s_waitcnt lgkmcnt(0)
	v_add_nc_u16 v0, v28, 1
	ds_store_b16 v29, v0
	s_waitcnt lgkmcnt(0)
	s_barrier
	buffer_gl0_inv
	ds_load_2addr_b64 v[4:7], v17 offset1:1
	ds_load_2addr_b64 v[0:3], v17 offset0:2 offset1:3
	s_waitcnt lgkmcnt(1)
	v_add_nc_u32_e32 v30, v5, v4
	s_delay_alu instid0(VALU_DEP_1) | instskip(SKIP_1) | instid1(VALU_DEP_1)
	v_add3_u32 v30, v30, v6, v7
	s_waitcnt lgkmcnt(0)
	v_add3_u32 v30, v30, v0, v1
	s_delay_alu instid0(VALU_DEP_1) | instskip(NEXT) | instid1(VALU_DEP_1)
	v_add3_u32 v3, v30, v2, v3
	v_mov_b32_dpp v30, v3 row_shr:1 row_mask:0xf bank_mask:0xf
	s_delay_alu instid0(VALU_DEP_1) | instskip(NEXT) | instid1(VALU_DEP_1)
	v_cndmask_b32_e64 v30, v30, 0, s9
	v_add_nc_u32_e32 v3, v30, v3
	s_delay_alu instid0(VALU_DEP_1) | instskip(NEXT) | instid1(VALU_DEP_1)
	v_mov_b32_dpp v30, v3 row_shr:2 row_mask:0xf bank_mask:0xf
	v_cndmask_b32_e64 v30, 0, v30, s8
	s_delay_alu instid0(VALU_DEP_1) | instskip(NEXT) | instid1(VALU_DEP_1)
	v_add_nc_u32_e32 v3, v3, v30
	v_mov_b32_dpp v30, v3 row_shr:4 row_mask:0xf bank_mask:0xf
	s_delay_alu instid0(VALU_DEP_1) | instskip(NEXT) | instid1(VALU_DEP_1)
	v_cndmask_b32_e64 v30, 0, v30, s7
	v_add_nc_u32_e32 v3, v3, v30
	s_delay_alu instid0(VALU_DEP_1) | instskip(NEXT) | instid1(VALU_DEP_1)
	v_mov_b32_dpp v30, v3 row_shr:8 row_mask:0xf bank_mask:0xf
	v_cndmask_b32_e64 v30, 0, v30, s6
	s_delay_alu instid0(VALU_DEP_1) | instskip(SKIP_3) | instid1(VALU_DEP_1)
	v_add_nc_u32_e32 v3, v3, v30
	ds_swizzle_b32 v30, v3 offset:swizzle(BROADCAST,32,15)
	s_waitcnt lgkmcnt(0)
	v_cndmask_b32_e64 v30, v30, 0, s5
	v_add_nc_u32_e32 v3, v3, v30
	s_and_saveexec_b32 s5, s10
	s_cbranch_execz .LBB34_79
; %bb.78:
	ds_store_b32 v20, v3 offset:3264
.LBB34_79:
	s_or_b32 exec_lo, exec_lo, s5
	s_waitcnt lgkmcnt(0)
	s_barrier
	buffer_gl0_inv
	s_and_saveexec_b32 s5, s2
	s_cbranch_execz .LBB34_81
; %bb.80:
	ds_load_b32 v30, v21 offset:3264
	s_waitcnt lgkmcnt(0)
	v_mov_b32_dpp v31, v30 row_shr:1 row_mask:0xf bank_mask:0xf
	s_delay_alu instid0(VALU_DEP_1) | instskip(NEXT) | instid1(VALU_DEP_1)
	v_cndmask_b32_e64 v31, v31, 0, s4
	v_add_nc_u32_e32 v30, v31, v30
	s_delay_alu instid0(VALU_DEP_1) | instskip(NEXT) | instid1(VALU_DEP_1)
	v_mov_b32_dpp v31, v30 row_shr:2 row_mask:0xf bank_mask:0xf
	v_cndmask_b32_e64 v31, 0, v31, s3
	s_delay_alu instid0(VALU_DEP_1)
	v_add_nc_u32_e32 v30, v30, v31
	ds_store_b32 v21, v30 offset:3264
.LBB34_81:
	s_or_b32 exec_lo, exec_lo, s5
	v_dual_mov_b32 v21, 0 :: v_dual_mov_b32 v30, 0
	s_waitcnt lgkmcnt(0)
	s_barrier
	buffer_gl0_inv
	s_and_saveexec_b32 s2, s1
	s_cbranch_execz .LBB34_83
; %bb.82:
	ds_load_b32 v30, v20 offset:3260
.LBB34_83:
	s_or_b32 exec_lo, exec_lo, s2
	s_waitcnt lgkmcnt(0)
	v_add_nc_u32_e32 v3, v30, v3
	ds_bpermute_b32 v3, v19, v3
	ds_load_b32 v19, v21 offset:3276
	s_waitcnt lgkmcnt(1)
	v_cndmask_b32_e64 v3, v3, v30, s0
	s_waitcnt lgkmcnt(0)
	s_delay_alu instid0(VALU_DEP_1) | instskip(NEXT) | instid1(VALU_DEP_1)
	v_lshl_add_u32 v3, v19, 16, v3
	v_add_nc_u32_e32 v4, v3, v4
	s_delay_alu instid0(VALU_DEP_1) | instskip(NEXT) | instid1(VALU_DEP_1)
	v_add_nc_u32_e32 v5, v4, v5
	v_add_nc_u32_e32 v6, v5, v6
	s_delay_alu instid0(VALU_DEP_1) | instskip(NEXT) | instid1(VALU_DEP_1)
	v_add_nc_u32_e32 v19, v6, v7
	;; [unrolled: 3-line block ×3, first 2 shown]
	v_add_nc_u32_e32 v1, v0, v2
	ds_store_2addr_b64 v17, v[3:4], v[5:6] offset1:1
	ds_store_2addr_b64 v17, v[19:20], v[0:1] offset0:2 offset1:3
	s_waitcnt lgkmcnt(0)
	s_barrier
	buffer_gl0_inv
	ds_load_u16 v0, v22
	ds_load_u16 v1, v26
	;; [unrolled: 1-line block ×3, first 2 shown]
	v_and_b32_e32 v3, 0xffff, v25
	v_and_b32_e32 v4, 0xffff, v27
	;; [unrolled: 1-line block ×3, first 2 shown]
	s_waitcnt lgkmcnt(0)
	s_barrier
	buffer_gl0_inv
	v_add_lshl_u32 v0, v0, v3, 1
	v_add_lshl_u32 v3, v1, v4, 1
	;; [unrolled: 1-line block ×3, first 2 shown]
	ds_store_b16 v0, v11
	ds_store_b16 v3, v23
	;; [unrolled: 1-line block ×3, first 2 shown]
	s_waitcnt lgkmcnt(0)
	s_barrier
	buffer_gl0_inv
	ds_load_b32 v1, v18
	ds_load_u16 v2, v18 offset:4
	v_add_nc_u32_e32 v0, v0, v0
	v_add_nc_u32_e32 v3, v3, v3
	;; [unrolled: 1-line block ×3, first 2 shown]
	s_waitcnt lgkmcnt(0)
	s_barrier
	buffer_gl0_inv
	ds_store_b32 v0, v8
	ds_store_b32 v3, v9
	;; [unrolled: 1-line block ×3, first 2 shown]
	s_waitcnt lgkmcnt(0)
	s_barrier
.LBB34_84:
	s_waitcnt vmcnt(0)
	buffer_gl0_inv
	ds_load_2addr_b32 v[3:4], v16 offset1:1
	ds_load_b32 v5, v16 offset:8
	v_xor_b32_e32 v0, -1, v2
	v_xor_b32_e32 v1, -1, v1
	s_clause 0x1
	global_store_b16 v[14:15], v0, off offset:4
	global_store_b32 v[14:15], v1, off
	s_waitcnt lgkmcnt(0)
	global_store_b96 v[12:13], v[3:5], off
	s_nop 0
	s_sendmsg sendmsg(MSG_DEALLOC_VGPRS)
	s_endpgm
	.section	.rodata,"a",@progbits
	.p2align	6, 0x0
	.amdhsa_kernel _Z21sort_key_value_kernelILj102ELj3ELb0ELb1EtiEvPT3_PT4_jj
		.amdhsa_group_segment_fixed_size 3280
		.amdhsa_private_segment_fixed_size 0
		.amdhsa_kernarg_size 24
		.amdhsa_user_sgpr_count 15
		.amdhsa_user_sgpr_dispatch_ptr 0
		.amdhsa_user_sgpr_queue_ptr 0
		.amdhsa_user_sgpr_kernarg_segment_ptr 1
		.amdhsa_user_sgpr_dispatch_id 0
		.amdhsa_user_sgpr_private_segment_size 0
		.amdhsa_wavefront_size32 1
		.amdhsa_uses_dynamic_stack 0
		.amdhsa_enable_private_segment 0
		.amdhsa_system_sgpr_workgroup_id_x 1
		.amdhsa_system_sgpr_workgroup_id_y 0
		.amdhsa_system_sgpr_workgroup_id_z 0
		.amdhsa_system_sgpr_workgroup_info 0
		.amdhsa_system_vgpr_workitem_id 0
		.amdhsa_next_free_vgpr 38
		.amdhsa_next_free_sgpr 27
		.amdhsa_reserve_vcc 1
		.amdhsa_float_round_mode_32 0
		.amdhsa_float_round_mode_16_64 0
		.amdhsa_float_denorm_mode_32 3
		.amdhsa_float_denorm_mode_16_64 3
		.amdhsa_dx10_clamp 1
		.amdhsa_ieee_mode 1
		.amdhsa_fp16_overflow 0
		.amdhsa_workgroup_processor_mode 1
		.amdhsa_memory_ordered 1
		.amdhsa_forward_progress 0
		.amdhsa_shared_vgpr_count 0
		.amdhsa_exception_fp_ieee_invalid_op 0
		.amdhsa_exception_fp_denorm_src 0
		.amdhsa_exception_fp_ieee_div_zero 0
		.amdhsa_exception_fp_ieee_overflow 0
		.amdhsa_exception_fp_ieee_underflow 0
		.amdhsa_exception_fp_ieee_inexact 0
		.amdhsa_exception_int_div_zero 0
	.end_amdhsa_kernel
	.section	.text._Z21sort_key_value_kernelILj102ELj3ELb0ELb1EtiEvPT3_PT4_jj,"axG",@progbits,_Z21sort_key_value_kernelILj102ELj3ELb0ELb1EtiEvPT3_PT4_jj,comdat
.Lfunc_end34:
	.size	_Z21sort_key_value_kernelILj102ELj3ELb0ELb1EtiEvPT3_PT4_jj, .Lfunc_end34-_Z21sort_key_value_kernelILj102ELj3ELb0ELb1EtiEvPT3_PT4_jj
                                        ; -- End function
	.section	.AMDGPU.csdata,"",@progbits
; Kernel info:
; codeLenInByte = 6652
; NumSgprs: 29
; NumVgprs: 38
; ScratchSize: 0
; MemoryBound: 0
; FloatMode: 240
; IeeeMode: 1
; LDSByteSize: 3280 bytes/workgroup (compile time only)
; SGPRBlocks: 3
; VGPRBlocks: 4
; NumSGPRsForWavesPerEU: 29
; NumVGPRsForWavesPerEU: 38
; Occupancy: 16
; WaveLimiterHint : 0
; COMPUTE_PGM_RSRC2:SCRATCH_EN: 0
; COMPUTE_PGM_RSRC2:USER_SGPR: 15
; COMPUTE_PGM_RSRC2:TRAP_HANDLER: 0
; COMPUTE_PGM_RSRC2:TGID_X_EN: 1
; COMPUTE_PGM_RSRC2:TGID_Y_EN: 0
; COMPUTE_PGM_RSRC2:TGID_Z_EN: 0
; COMPUTE_PGM_RSRC2:TIDIG_COMP_CNT: 0
	.section	.text._Z21sort_key_value_kernelILj64ELj1ELb0ELb0EycEvPT3_PT4_jj,"axG",@progbits,_Z21sort_key_value_kernelILj64ELj1ELb0ELb0EycEvPT3_PT4_jj,comdat
	.protected	_Z21sort_key_value_kernelILj64ELj1ELb0ELb0EycEvPT3_PT4_jj ; -- Begin function _Z21sort_key_value_kernelILj64ELj1ELb0ELb0EycEvPT3_PT4_jj
	.globl	_Z21sort_key_value_kernelILj64ELj1ELb0ELb0EycEvPT3_PT4_jj
	.p2align	8
	.type	_Z21sort_key_value_kernelILj64ELj1ELb0ELb0EycEvPT3_PT4_jj,@function
_Z21sort_key_value_kernelILj64ELj1ELb0ELb0EycEvPT3_PT4_jj: ; @_Z21sort_key_value_kernelILj64ELj1ELb0ELb0EycEvPT3_PT4_jj
; %bb.0:
	s_clause 0x1
	s_load_b128 s[4:7], s[0:1], 0x0
	s_load_b64 s[16:17], s[0:1], 0x10
	v_mbcnt_lo_u32_b32 v3, -1, 0
	s_lshl_b32 s18, s15, 6
	s_mov_b32 s19, 0
	v_bfe_u32 v1, v0, 10, 10
	s_lshl_b64 s[2:3], s[18:19], 3
	v_add_nc_u32_e32 v4, -1, v3
	v_cmp_eq_u32_e64 s8, 0, v3
	s_delay_alu instid0(VALU_DEP_2) | instskip(SKIP_2) | instid1(VALU_DEP_2)
	v_cmp_gt_i32_e32 vcc_lo, 0, v4
	v_and_b32_e32 v8, 0x3ff, v0
	v_bfe_u32 v0, v0, 20, 10
	v_lshlrev_b32_e32 v21, 3, v8
	s_waitcnt lgkmcnt(0)
	s_add_u32 s12, s4, s2
	s_addc_u32 s13, s5, s3
	s_add_u32 s14, s6, s18
	s_addc_u32 s15, s7, 0
	global_load_b64 v[9:10], v21, s[12:13]
	global_load_u8 v31, v8, s[14:15]
	s_load_b32 s0, s[0:1], 0x24
	s_cmp_eq_u32 s16, 0
	s_cselect_b32 s1, -1, 0
	s_cmp_eq_u32 s17, 64
	s_cselect_b32 s2, -1, 0
	s_delay_alu instid0(SALU_CYCLE_1)
	s_and_b32 s11, s1, s2
	s_waitcnt lgkmcnt(0)
	s_lshr_b32 s3, s0, 16
	s_and_b32 s0, s0, 0xffff
	v_mad_u32_u24 v2, v0, s3, v1
	s_waitcnt vmcnt(1)
	s_delay_alu instid0(VALU_DEP_1) | instskip(SKIP_2) | instid1(VALU_DEP_2)
	v_mad_u64_u32 v[0:1], null, v2, s0, v[8:9]
	v_and_b32_e32 v1, 15, v3
	v_and_b32_e32 v2, 16, v3
	v_cmp_eq_u32_e64 s0, 0, v1
	s_delay_alu instid0(VALU_DEP_4)
	v_lshrrev_b32_e32 v24, 5, v0
	v_cmp_lt_u32_e64 s1, 1, v1
	v_cmp_lt_u32_e64 s2, 3, v1
	;; [unrolled: 1-line block ×3, first 2 shown]
	v_dual_cndmask_b32 v1, v4, v3 :: v_dual_and_b32 v0, 32, v8
	v_cmp_eq_u32_e64 s4, 0, v2
	v_lshrrev_b32_e32 v2, 3, v8
	v_lshlrev_b32_e32 v22, 5, v8
	s_delay_alu instid0(VALU_DEP_4)
	v_lshlrev_b32_e32 v25, 2, v1
	v_or_b32_e32 v5, 31, v0
	v_and_b32_e32 v1, 1, v3
	v_and_b32_e32 v26, 4, v2
	v_or_b32_e32 v27, v3, v0
	v_mul_i32_i24_e32 v0, 0xffffffe4, v8
	v_or_b32_e32 v23, 8, v22
	v_cmp_eq_u32_e64 s5, v5, v8
	v_cmp_gt_u32_e64 s6, 2, v8
	v_cmp_lt_u32_e64 s7, 31, v8
	v_cmp_eq_u32_e64 s9, 0, v8
	v_cmp_eq_u32_e64 s10, 0, v1
	v_add_nc_u32_e32 v28, -4, v26
	v_lshlrev_b32_e32 v29, 3, v27
	v_add_nc_u32_e32 v30, v22, v0
	s_and_b32 vcc_lo, exec_lo, s11
	s_mov_b32 s11, -1
	s_cbranch_vccnz .LBB35_14
; %bb.1:
	s_mov_b32 s18, s19
	s_mov_b32 s20, s19
	;; [unrolled: 1-line block ×3, first 2 shown]
	v_dual_mov_b32 v0, v9 :: v_dual_mov_b32 v11, s18
	v_dual_mov_b32 v12, s19 :: v_dual_mov_b32 v13, s20
	v_mov_b32_e32 v14, s21
	s_waitcnt vmcnt(0)
	v_dual_mov_b32 v2, v31 :: v_dual_mov_b32 v1, v10
	s_sub_i32 s18, s17, s16
	s_branch .LBB35_3
.LBB35_2:                               ;   in Loop: Header=BB35_3 Depth=1
	s_barrier
	buffer_gl0_inv
	ds_store_b64 v4, v[15:16]
	s_waitcnt lgkmcnt(0)
	s_barrier
	buffer_gl0_inv
	ds_load_b64 v[0:1], v29
	s_waitcnt lgkmcnt(0)
	s_barrier
	buffer_gl0_inv
	ds_store_b8 v3, v17
	s_waitcnt lgkmcnt(0)
	s_barrier
	buffer_gl0_inv
	ds_load_u8 v2, v27
	s_add_i32 s18, s18, -8
	s_waitcnt lgkmcnt(0)
	s_barrier
	buffer_gl0_inv
	s_cbranch_execz .LBB35_13
.LBB35_3:                               ; =>This Inner Loop Header: Depth=1
	s_delay_alu instid0(VALU_DEP_1)
	v_dual_mov_b32 v16, v1 :: v_dual_mov_b32 v15, v0
	s_min_u32 s11, s18, 8
	ds_store_2addr_b64 v22, v[11:12], v[13:14] offset0:1 offset1:2
	ds_store_2addr_b64 v23, v[11:12], v[13:14] offset0:2 offset1:3
	s_waitcnt lgkmcnt(0)
	s_barrier
	v_lshrrev_b64 v[0:1], s16, v[15:16]
	buffer_gl0_inv
	; wave barrier
	v_bfe_u32 v1, v0, 0, s11
	s_delay_alu instid0(VALU_DEP_1)
	v_and_b32_e32 v0, 1, v1
	v_lshlrev_b32_e32 v3, 30, v1
	v_lshlrev_b32_e32 v4, 29, v1
	;; [unrolled: 1-line block ×4, first 2 shown]
	v_add_co_u32 v0, s11, v0, -1
	s_delay_alu instid0(VALU_DEP_1)
	v_cndmask_b32_e64 v6, 0, 1, s11
	v_not_b32_e32 v19, v3
	v_cmp_gt_i32_e64 s11, 0, v3
	v_not_b32_e32 v3, v4
	v_lshlrev_b32_e32 v17, 26, v1
	v_cmp_ne_u32_e32 vcc_lo, 0, v6
	v_ashrrev_i32_e32 v19, 31, v19
	v_lshlrev_b32_e32 v18, 25, v1
	v_ashrrev_i32_e32 v3, 31, v3
	v_lshlrev_b32_e32 v6, 24, v1
	v_xor_b32_e32 v0, vcc_lo, v0
	v_cmp_gt_i32_e32 vcc_lo, 0, v4
	v_not_b32_e32 v4, v5
	v_xor_b32_e32 v19, s11, v19
	v_cmp_gt_i32_e64 s11, 0, v5
	v_and_b32_e32 v0, exec_lo, v0
	v_not_b32_e32 v5, v7
	v_ashrrev_i32_e32 v4, 31, v4
	v_xor_b32_e32 v3, vcc_lo, v3
	v_cmp_gt_i32_e32 vcc_lo, 0, v7
	v_and_b32_e32 v0, v0, v19
	v_not_b32_e32 v7, v17
	v_ashrrev_i32_e32 v5, 31, v5
	v_xor_b32_e32 v4, s11, v4
	v_cmp_gt_i32_e64 s11, 0, v17
	v_dual_mov_b32 v17, v2 :: v_dual_and_b32 v0, v0, v3
	v_not_b32_e32 v3, v18
	v_ashrrev_i32_e32 v7, 31, v7
	v_xor_b32_e32 v5, vcc_lo, v5
	v_cmp_gt_i32_e32 vcc_lo, 0, v18
	v_and_b32_e32 v0, v0, v4
	v_not_b32_e32 v4, v6
	v_ashrrev_i32_e32 v3, 31, v3
	v_xor_b32_e32 v7, s11, v7
	v_cmp_gt_i32_e64 s11, 0, v6
	v_and_b32_e32 v0, v0, v5
	v_ashrrev_i32_e32 v4, 31, v4
	v_xor_b32_e32 v3, vcc_lo, v3
	v_lshl_add_u32 v1, v1, 1, v24
	s_delay_alu instid0(VALU_DEP_4) | instskip(NEXT) | instid1(VALU_DEP_4)
	v_and_b32_e32 v0, v0, v7
	v_xor_b32_e32 v4, s11, v4
	s_delay_alu instid0(VALU_DEP_3) | instskip(NEXT) | instid1(VALU_DEP_3)
	v_lshl_add_u32 v19, v1, 2, 8
	v_and_b32_e32 v0, v0, v3
	s_delay_alu instid0(VALU_DEP_1) | instskip(NEXT) | instid1(VALU_DEP_1)
	v_and_b32_e32 v0, v0, v4
	v_mbcnt_lo_u32_b32 v18, v0, 0
	v_cmp_ne_u32_e64 s11, 0, v0
	s_delay_alu instid0(VALU_DEP_2) | instskip(NEXT) | instid1(VALU_DEP_2)
	v_cmp_eq_u32_e32 vcc_lo, 0, v18
	s_and_b32 s19, s11, vcc_lo
	s_delay_alu instid0(SALU_CYCLE_1)
	s_and_saveexec_b32 s11, s19
	s_cbranch_execz .LBB35_5
; %bb.4:                                ;   in Loop: Header=BB35_3 Depth=1
	v_bcnt_u32_b32 v0, v0, 0
	ds_store_b32 v19, v0
.LBB35_5:                               ;   in Loop: Header=BB35_3 Depth=1
	s_or_b32 exec_lo, exec_lo, s11
	; wave barrier
	s_waitcnt lgkmcnt(0)
	s_barrier
	buffer_gl0_inv
	ds_load_2addr_b64 v[4:7], v22 offset0:1 offset1:2
	ds_load_2addr_b64 v[0:3], v23 offset0:2 offset1:3
	s_waitcnt lgkmcnt(1)
	v_add_nc_u32_e32 v20, v5, v4
	s_delay_alu instid0(VALU_DEP_1) | instskip(SKIP_1) | instid1(VALU_DEP_1)
	v_add3_u32 v20, v20, v6, v7
	s_waitcnt lgkmcnt(0)
	v_add3_u32 v20, v20, v0, v1
	s_delay_alu instid0(VALU_DEP_1) | instskip(NEXT) | instid1(VALU_DEP_1)
	v_add3_u32 v3, v20, v2, v3
	v_mov_b32_dpp v20, v3 row_shr:1 row_mask:0xf bank_mask:0xf
	s_delay_alu instid0(VALU_DEP_1) | instskip(NEXT) | instid1(VALU_DEP_1)
	v_cndmask_b32_e64 v20, v20, 0, s0
	v_add_nc_u32_e32 v3, v20, v3
	s_delay_alu instid0(VALU_DEP_1) | instskip(NEXT) | instid1(VALU_DEP_1)
	v_mov_b32_dpp v20, v3 row_shr:2 row_mask:0xf bank_mask:0xf
	v_cndmask_b32_e64 v20, 0, v20, s1
	s_delay_alu instid0(VALU_DEP_1) | instskip(NEXT) | instid1(VALU_DEP_1)
	v_add_nc_u32_e32 v3, v3, v20
	v_mov_b32_dpp v20, v3 row_shr:4 row_mask:0xf bank_mask:0xf
	s_delay_alu instid0(VALU_DEP_1) | instskip(NEXT) | instid1(VALU_DEP_1)
	v_cndmask_b32_e64 v20, 0, v20, s2
	v_add_nc_u32_e32 v3, v3, v20
	s_delay_alu instid0(VALU_DEP_1) | instskip(NEXT) | instid1(VALU_DEP_1)
	v_mov_b32_dpp v20, v3 row_shr:8 row_mask:0xf bank_mask:0xf
	v_cndmask_b32_e64 v20, 0, v20, s3
	s_delay_alu instid0(VALU_DEP_1) | instskip(SKIP_3) | instid1(VALU_DEP_1)
	v_add_nc_u32_e32 v3, v3, v20
	ds_swizzle_b32 v20, v3 offset:swizzle(BROADCAST,32,15)
	s_waitcnt lgkmcnt(0)
	v_cndmask_b32_e64 v20, v20, 0, s4
	v_add_nc_u32_e32 v3, v3, v20
	s_and_saveexec_b32 s11, s5
	s_cbranch_execz .LBB35_7
; %bb.6:                                ;   in Loop: Header=BB35_3 Depth=1
	ds_store_b32 v26, v3
.LBB35_7:                               ;   in Loop: Header=BB35_3 Depth=1
	s_or_b32 exec_lo, exec_lo, s11
	s_waitcnt lgkmcnt(0)
	s_barrier
	buffer_gl0_inv
	s_and_saveexec_b32 s11, s6
	s_cbranch_execz .LBB35_9
; %bb.8:                                ;   in Loop: Header=BB35_3 Depth=1
	ds_load_b32 v20, v30
	s_waitcnt lgkmcnt(0)
	v_mov_b32_dpp v32, v20 row_shr:1 row_mask:0xf bank_mask:0xf
	s_delay_alu instid0(VALU_DEP_1) | instskip(NEXT) | instid1(VALU_DEP_1)
	v_cndmask_b32_e64 v32, v32, 0, s10
	v_add_nc_u32_e32 v20, v32, v20
	ds_store_b32 v30, v20
.LBB35_9:                               ;   in Loop: Header=BB35_3 Depth=1
	s_or_b32 exec_lo, exec_lo, s11
	v_mov_b32_e32 v20, 0
	s_waitcnt lgkmcnt(0)
	s_barrier
	buffer_gl0_inv
	s_and_saveexec_b32 s11, s7
	s_cbranch_execz .LBB35_11
; %bb.10:                               ;   in Loop: Header=BB35_3 Depth=1
	ds_load_b32 v20, v28
.LBB35_11:                              ;   in Loop: Header=BB35_3 Depth=1
	s_or_b32 exec_lo, exec_lo, s11
	s_waitcnt lgkmcnt(0)
	v_add_nc_u32_e32 v3, v20, v3
	s_add_i32 s16, s16, 8
	s_delay_alu instid0(SALU_CYCLE_1) | instskip(SKIP_3) | instid1(VALU_DEP_1)
	s_cmp_ge_u32 s16, s17
	ds_bpermute_b32 v3, v25, v3
	s_waitcnt lgkmcnt(0)
	v_cndmask_b32_e64 v3, v3, v20, s8
	v_cndmask_b32_e64 v3, v3, 0, s9
	s_delay_alu instid0(VALU_DEP_1) | instskip(NEXT) | instid1(VALU_DEP_1)
	v_add_nc_u32_e32 v4, v3, v4
	v_add_nc_u32_e32 v5, v4, v5
	s_delay_alu instid0(VALU_DEP_1) | instskip(NEXT) | instid1(VALU_DEP_1)
	v_add_nc_u32_e32 v6, v5, v6
	v_add_nc_u32_e32 v32, v6, v7
	;; [unrolled: 3-line block ×3, first 2 shown]
	s_delay_alu instid0(VALU_DEP_1)
	v_add_nc_u32_e32 v1, v0, v2
	ds_store_2addr_b64 v22, v[3:4], v[5:6] offset0:1 offset1:2
	ds_store_2addr_b64 v23, v[32:33], v[0:1] offset0:2 offset1:3
	s_waitcnt lgkmcnt(0)
	s_barrier
	buffer_gl0_inv
	ds_load_b32 v0, v19
	s_waitcnt lgkmcnt(0)
	v_add_nc_u32_e32 v3, v0, v18
	s_delay_alu instid0(VALU_DEP_1)
	v_lshlrev_b32_e32 v4, 3, v3
	s_cbranch_scc0 .LBB35_2
; %bb.12:
                                        ; implicit-def: $vgpr0_vgpr1
                                        ; implicit-def: $vgpr2
                                        ; implicit-def: $sgpr18
.LBB35_13:
	s_barrier
	buffer_gl0_inv
	ds_store_b64 v4, v[15:16]
	s_waitcnt lgkmcnt(0)
	s_barrier
	buffer_gl0_inv
	ds_load_b64 v[1:2], v21
	s_waitcnt lgkmcnt(0)
	s_barrier
	buffer_gl0_inv
	ds_store_b8 v3, v17
	s_waitcnt lgkmcnt(0)
	s_mov_b32 s11, 0
	s_barrier
	s_branch .LBB35_15
.LBB35_14:
                                        ; implicit-def: $vgpr1_vgpr2
.LBB35_15:
	v_add_co_u32 v11, s12, s12, v21
	s_delay_alu instid0(VALU_DEP_1) | instskip(SKIP_1) | instid1(VALU_DEP_1)
	v_add_co_ci_u32_e64 v12, null, s13, 0, s12
	v_add_co_u32 v13, s12, s14, v8
	v_add_co_ci_u32_e64 v14, null, s15, 0, s12
	s_and_b32 vcc_lo, exec_lo, s11
	s_cbranch_vccz .LBB35_29
; %bb.16:
	s_mov_b32 s12, 0
	s_delay_alu instid0(SALU_CYCLE_1)
	s_mov_b32 s13, s12
	s_mov_b32 s14, s12
	s_mov_b32 s15, s12
	v_dual_mov_b32 v16, s13 :: v_dual_mov_b32 v15, s12
	v_dual_mov_b32 v18, s15 :: v_dual_mov_b32 v17, s14
	s_mov_b64 s[12:13], 0
	s_branch .LBB35_18
.LBB35_17:                              ;   in Loop: Header=BB35_18 Depth=1
	s_delay_alu instid0(VALU_DEP_1)
	v_mad_u64_u32 v[1:2], null, v0, 7, v[0:1]
	s_barrier
	buffer_gl0_inv
	s_add_u32 s12, s12, 8
	s_addc_u32 s13, s13, 0
	ds_store_b64 v1, v[19:20]
	s_waitcnt lgkmcnt(0)
	s_barrier
	buffer_gl0_inv
	ds_load_b64 v[9:10], v29
	s_waitcnt lgkmcnt(0)
	s_barrier
	buffer_gl0_inv
	ds_store_b8 v0, v32
	s_waitcnt lgkmcnt(0)
	s_barrier
	buffer_gl0_inv
	ds_load_u8 v31, v27
	s_waitcnt lgkmcnt(0)
	s_barrier
	buffer_gl0_inv
	s_cbranch_execz .LBB35_28
.LBB35_18:                              ; =>This Inner Loop Header: Depth=1
	v_dual_mov_b32 v20, v10 :: v_dual_mov_b32 v19, v9
	ds_store_2addr_b64 v22, v[15:16], v[17:18] offset0:1 offset1:2
	ds_store_2addr_b64 v23, v[15:16], v[17:18] offset0:2 offset1:3
	s_waitcnt vmcnt(0) lgkmcnt(0)
	s_barrier
	buffer_gl0_inv
	v_lshrrev_b64 v[1:2], s12, v[19:20]
	; wave barrier
	v_mov_b32_e32 v32, v31
	s_delay_alu instid0(VALU_DEP_2)
	v_and_b32_e32 v0, 1, v1
	v_lshlrev_b32_e32 v2, 30, v1
	v_lshlrev_b32_e32 v3, 29, v1
	;; [unrolled: 1-line block ×4, first 2 shown]
	v_add_co_u32 v0, s11, v0, -1
	s_delay_alu instid0(VALU_DEP_1)
	v_cndmask_b32_e64 v5, 0, 1, s11
	v_not_b32_e32 v10, v2
	v_cmp_gt_i32_e64 s11, 0, v2
	v_not_b32_e32 v2, v3
	v_lshlrev_b32_e32 v7, 26, v1
	v_cmp_ne_u32_e32 vcc_lo, 0, v5
	v_ashrrev_i32_e32 v10, 31, v10
	v_lshlrev_b32_e32 v9, 25, v1
	v_ashrrev_i32_e32 v2, 31, v2
	v_lshlrev_b32_e32 v5, 24, v1
	v_xor_b32_e32 v0, vcc_lo, v0
	v_cmp_gt_i32_e32 vcc_lo, 0, v3
	v_not_b32_e32 v3, v4
	v_xor_b32_e32 v10, s11, v10
	v_cmp_gt_i32_e64 s11, 0, v4
	v_and_b32_e32 v0, exec_lo, v0
	v_not_b32_e32 v4, v6
	v_ashrrev_i32_e32 v3, 31, v3
	v_xor_b32_e32 v2, vcc_lo, v2
	v_cmp_gt_i32_e32 vcc_lo, 0, v6
	v_and_b32_e32 v0, v0, v10
	v_not_b32_e32 v6, v7
	v_ashrrev_i32_e32 v4, 31, v4
	v_xor_b32_e32 v3, s11, v3
	v_cmp_gt_i32_e64 s11, 0, v7
	v_and_b32_e32 v0, v0, v2
	v_not_b32_e32 v2, v9
	v_ashrrev_i32_e32 v6, 31, v6
	v_xor_b32_e32 v4, vcc_lo, v4
	v_cmp_gt_i32_e32 vcc_lo, 0, v9
	v_and_b32_e32 v0, v0, v3
	v_not_b32_e32 v3, v5
	v_ashrrev_i32_e32 v2, 31, v2
	v_xor_b32_e32 v6, s11, v6
	v_cmp_gt_i32_e64 s11, 0, v5
	v_and_b32_e32 v0, v0, v4
	v_ashrrev_i32_e32 v3, 31, v3
	v_xor_b32_e32 v2, vcc_lo, v2
	v_and_b32_e32 v1, 0xff, v1
	s_delay_alu instid0(VALU_DEP_4) | instskip(NEXT) | instid1(VALU_DEP_4)
	v_and_b32_e32 v0, v0, v6
	v_xor_b32_e32 v3, s11, v3
	s_delay_alu instid0(VALU_DEP_3) | instskip(NEXT) | instid1(VALU_DEP_3)
	v_lshl_add_u32 v1, v1, 1, v24
	v_and_b32_e32 v0, v0, v2
	s_delay_alu instid0(VALU_DEP_2) | instskip(NEXT) | instid1(VALU_DEP_2)
	v_lshl_add_u32 v10, v1, 2, 8
	v_and_b32_e32 v0, v0, v3
	s_delay_alu instid0(VALU_DEP_1) | instskip(SKIP_1) | instid1(VALU_DEP_2)
	v_mbcnt_lo_u32_b32 v9, v0, 0
	v_cmp_ne_u32_e64 s11, 0, v0
	v_cmp_eq_u32_e32 vcc_lo, 0, v9
	s_delay_alu instid0(VALU_DEP_2) | instskip(NEXT) | instid1(SALU_CYCLE_1)
	s_and_b32 s14, s11, vcc_lo
	s_and_saveexec_b32 s11, s14
	s_cbranch_execz .LBB35_20
; %bb.19:                               ;   in Loop: Header=BB35_18 Depth=1
	v_bcnt_u32_b32 v0, v0, 0
	ds_store_b32 v10, v0
.LBB35_20:                              ;   in Loop: Header=BB35_18 Depth=1
	s_or_b32 exec_lo, exec_lo, s11
	; wave barrier
	s_waitcnt lgkmcnt(0)
	s_barrier
	buffer_gl0_inv
	ds_load_2addr_b64 v[4:7], v22 offset0:1 offset1:2
	ds_load_2addr_b64 v[0:3], v23 offset0:2 offset1:3
	s_waitcnt lgkmcnt(1)
	v_add_nc_u32_e32 v31, v5, v4
	s_delay_alu instid0(VALU_DEP_1) | instskip(SKIP_1) | instid1(VALU_DEP_1)
	v_add3_u32 v31, v31, v6, v7
	s_waitcnt lgkmcnt(0)
	v_add3_u32 v31, v31, v0, v1
	s_delay_alu instid0(VALU_DEP_1) | instskip(NEXT) | instid1(VALU_DEP_1)
	v_add3_u32 v3, v31, v2, v3
	v_mov_b32_dpp v31, v3 row_shr:1 row_mask:0xf bank_mask:0xf
	s_delay_alu instid0(VALU_DEP_1) | instskip(NEXT) | instid1(VALU_DEP_1)
	v_cndmask_b32_e64 v31, v31, 0, s0
	v_add_nc_u32_e32 v3, v31, v3
	s_delay_alu instid0(VALU_DEP_1) | instskip(NEXT) | instid1(VALU_DEP_1)
	v_mov_b32_dpp v31, v3 row_shr:2 row_mask:0xf bank_mask:0xf
	v_cndmask_b32_e64 v31, 0, v31, s1
	s_delay_alu instid0(VALU_DEP_1) | instskip(NEXT) | instid1(VALU_DEP_1)
	v_add_nc_u32_e32 v3, v3, v31
	v_mov_b32_dpp v31, v3 row_shr:4 row_mask:0xf bank_mask:0xf
	s_delay_alu instid0(VALU_DEP_1) | instskip(NEXT) | instid1(VALU_DEP_1)
	v_cndmask_b32_e64 v31, 0, v31, s2
	v_add_nc_u32_e32 v3, v3, v31
	s_delay_alu instid0(VALU_DEP_1) | instskip(NEXT) | instid1(VALU_DEP_1)
	v_mov_b32_dpp v31, v3 row_shr:8 row_mask:0xf bank_mask:0xf
	v_cndmask_b32_e64 v31, 0, v31, s3
	s_delay_alu instid0(VALU_DEP_1) | instskip(SKIP_3) | instid1(VALU_DEP_1)
	v_add_nc_u32_e32 v3, v3, v31
	ds_swizzle_b32 v31, v3 offset:swizzle(BROADCAST,32,15)
	s_waitcnt lgkmcnt(0)
	v_cndmask_b32_e64 v31, v31, 0, s4
	v_add_nc_u32_e32 v3, v3, v31
	s_and_saveexec_b32 s11, s5
	s_cbranch_execz .LBB35_22
; %bb.21:                               ;   in Loop: Header=BB35_18 Depth=1
	ds_store_b32 v26, v3
.LBB35_22:                              ;   in Loop: Header=BB35_18 Depth=1
	s_or_b32 exec_lo, exec_lo, s11
	s_waitcnt lgkmcnt(0)
	s_barrier
	buffer_gl0_inv
	s_and_saveexec_b32 s11, s6
	s_cbranch_execz .LBB35_24
; %bb.23:                               ;   in Loop: Header=BB35_18 Depth=1
	ds_load_b32 v31, v30
	s_waitcnt lgkmcnt(0)
	v_mov_b32_dpp v33, v31 row_shr:1 row_mask:0xf bank_mask:0xf
	s_delay_alu instid0(VALU_DEP_1) | instskip(NEXT) | instid1(VALU_DEP_1)
	v_cndmask_b32_e64 v33, v33, 0, s10
	v_add_nc_u32_e32 v31, v33, v31
	ds_store_b32 v30, v31
.LBB35_24:                              ;   in Loop: Header=BB35_18 Depth=1
	s_or_b32 exec_lo, exec_lo, s11
	v_mov_b32_e32 v31, 0
	s_waitcnt lgkmcnt(0)
	s_barrier
	buffer_gl0_inv
	s_and_saveexec_b32 s11, s7
	s_cbranch_execz .LBB35_26
; %bb.25:                               ;   in Loop: Header=BB35_18 Depth=1
	ds_load_b32 v31, v28
.LBB35_26:                              ;   in Loop: Header=BB35_18 Depth=1
	s_or_b32 exec_lo, exec_lo, s11
	s_waitcnt lgkmcnt(0)
	v_add_nc_u32_e32 v3, v31, v3
	s_cmp_gt_u32 s12, 55
	ds_bpermute_b32 v3, v25, v3
	s_waitcnt lgkmcnt(0)
	v_cndmask_b32_e64 v3, v3, v31, s8
	s_delay_alu instid0(VALU_DEP_1) | instskip(NEXT) | instid1(VALU_DEP_1)
	v_cndmask_b32_e64 v3, v3, 0, s9
	v_add_nc_u32_e32 v4, v3, v4
	s_delay_alu instid0(VALU_DEP_1) | instskip(NEXT) | instid1(VALU_DEP_1)
	v_add_nc_u32_e32 v5, v4, v5
	v_add_nc_u32_e32 v6, v5, v6
	s_delay_alu instid0(VALU_DEP_1) | instskip(NEXT) | instid1(VALU_DEP_1)
	v_add_nc_u32_e32 v33, v6, v7
	;; [unrolled: 3-line block ×3, first 2 shown]
	v_add_nc_u32_e32 v1, v0, v2
	ds_store_2addr_b64 v22, v[3:4], v[5:6] offset0:1 offset1:2
	ds_store_2addr_b64 v23, v[33:34], v[0:1] offset0:2 offset1:3
	s_waitcnt lgkmcnt(0)
	s_barrier
	buffer_gl0_inv
	ds_load_b32 v0, v10
	s_waitcnt lgkmcnt(0)
	v_add_nc_u32_e32 v0, v0, v9
	s_cbranch_scc0 .LBB35_17
; %bb.27:
                                        ; implicit-def: $vgpr9_vgpr10
                                        ; implicit-def: $vgpr31
                                        ; implicit-def: $sgpr12_sgpr13
.LBB35_28:
	s_delay_alu instid0(VALU_DEP_1)
	v_mad_u64_u32 v[1:2], null, v0, 7, v[0:1]
	s_barrier
	buffer_gl0_inv
	ds_store_b64 v1, v[19:20]
	s_waitcnt lgkmcnt(0)
	s_barrier
	buffer_gl0_inv
	ds_load_b64 v[1:2], v21
	s_waitcnt lgkmcnt(0)
	s_barrier
	buffer_gl0_inv
	ds_store_b8 v0, v32
	s_waitcnt lgkmcnt(0)
	s_barrier
.LBB35_29:
	s_waitcnt vmcnt(0)
	buffer_gl0_inv
	ds_load_u8 v0, v8
	global_store_b64 v[11:12], v[1:2], off
	s_waitcnt lgkmcnt(0)
	global_store_b8 v[13:14], v0, off
	s_nop 0
	s_sendmsg sendmsg(MSG_DEALLOC_VGPRS)
	s_endpgm
	.section	.rodata,"a",@progbits
	.p2align	6, 0x0
	.amdhsa_kernel _Z21sort_key_value_kernelILj64ELj1ELb0ELb0EycEvPT3_PT4_jj
		.amdhsa_group_segment_fixed_size 2064
		.amdhsa_private_segment_fixed_size 0
		.amdhsa_kernarg_size 280
		.amdhsa_user_sgpr_count 15
		.amdhsa_user_sgpr_dispatch_ptr 0
		.amdhsa_user_sgpr_queue_ptr 0
		.amdhsa_user_sgpr_kernarg_segment_ptr 1
		.amdhsa_user_sgpr_dispatch_id 0
		.amdhsa_user_sgpr_private_segment_size 0
		.amdhsa_wavefront_size32 1
		.amdhsa_uses_dynamic_stack 0
		.amdhsa_enable_private_segment 0
		.amdhsa_system_sgpr_workgroup_id_x 1
		.amdhsa_system_sgpr_workgroup_id_y 0
		.amdhsa_system_sgpr_workgroup_id_z 0
		.amdhsa_system_sgpr_workgroup_info 0
		.amdhsa_system_vgpr_workitem_id 2
		.amdhsa_next_free_vgpr 35
		.amdhsa_next_free_sgpr 22
		.amdhsa_reserve_vcc 1
		.amdhsa_float_round_mode_32 0
		.amdhsa_float_round_mode_16_64 0
		.amdhsa_float_denorm_mode_32 3
		.amdhsa_float_denorm_mode_16_64 3
		.amdhsa_dx10_clamp 1
		.amdhsa_ieee_mode 1
		.amdhsa_fp16_overflow 0
		.amdhsa_workgroup_processor_mode 1
		.amdhsa_memory_ordered 1
		.amdhsa_forward_progress 0
		.amdhsa_shared_vgpr_count 0
		.amdhsa_exception_fp_ieee_invalid_op 0
		.amdhsa_exception_fp_denorm_src 0
		.amdhsa_exception_fp_ieee_div_zero 0
		.amdhsa_exception_fp_ieee_overflow 0
		.amdhsa_exception_fp_ieee_underflow 0
		.amdhsa_exception_fp_ieee_inexact 0
		.amdhsa_exception_int_div_zero 0
	.end_amdhsa_kernel
	.section	.text._Z21sort_key_value_kernelILj64ELj1ELb0ELb0EycEvPT3_PT4_jj,"axG",@progbits,_Z21sort_key_value_kernelILj64ELj1ELb0ELb0EycEvPT3_PT4_jj,comdat
.Lfunc_end35:
	.size	_Z21sort_key_value_kernelILj64ELj1ELb0ELb0EycEvPT3_PT4_jj, .Lfunc_end35-_Z21sort_key_value_kernelILj64ELj1ELb0ELb0EycEvPT3_PT4_jj
                                        ; -- End function
	.section	.AMDGPU.csdata,"",@progbits
; Kernel info:
; codeLenInByte = 2692
; NumSgprs: 24
; NumVgprs: 35
; ScratchSize: 0
; MemoryBound: 0
; FloatMode: 240
; IeeeMode: 1
; LDSByteSize: 2064 bytes/workgroup (compile time only)
; SGPRBlocks: 2
; VGPRBlocks: 4
; NumSGPRsForWavesPerEU: 24
; NumVGPRsForWavesPerEU: 35
; Occupancy: 16
; WaveLimiterHint : 0
; COMPUTE_PGM_RSRC2:SCRATCH_EN: 0
; COMPUTE_PGM_RSRC2:USER_SGPR: 15
; COMPUTE_PGM_RSRC2:TRAP_HANDLER: 0
; COMPUTE_PGM_RSRC2:TGID_X_EN: 1
; COMPUTE_PGM_RSRC2:TGID_Y_EN: 0
; COMPUTE_PGM_RSRC2:TGID_Z_EN: 0
; COMPUTE_PGM_RSRC2:TIDIG_COMP_CNT: 2
	.section	.text._Z21sort_key_value_kernelILj234ELj9ELb0ELb0EsiEvPT3_PT4_jj,"axG",@progbits,_Z21sort_key_value_kernelILj234ELj9ELb0ELb0EsiEvPT3_PT4_jj,comdat
	.protected	_Z21sort_key_value_kernelILj234ELj9ELb0ELb0EsiEvPT3_PT4_jj ; -- Begin function _Z21sort_key_value_kernelILj234ELj9ELb0ELb0EsiEvPT3_PT4_jj
	.globl	_Z21sort_key_value_kernelILj234ELj9ELb0ELb0EsiEvPT3_PT4_jj
	.p2align	8
	.type	_Z21sort_key_value_kernelILj234ELj9ELb0ELb0EsiEvPT3_PT4_jj,@function
_Z21sort_key_value_kernelILj234ELj9ELb0ELb0EsiEvPT3_PT4_jj: ; @_Z21sort_key_value_kernelILj234ELj9ELb0ELb0EsiEvPT3_PT4_jj
; %bb.0:
	s_clause 0x1
	s_load_b128 s[4:7], s[0:1], 0x0
	s_load_b64 s[20:21], s[0:1], 0x10
	v_mbcnt_lo_u32_b32 v14, -1, 0
	v_mul_u32_u24_e32 v5, 9, v0
	s_mov_b32 s3, 0
	s_mul_i32 s2, s15, 0x83a
	v_lshlrev_b32_e32 v26, 5, v0
	v_add_nc_u32_e32 v18, -1, v14
	s_lshl_b64 s[8:9], s[2:3], 1
	v_lshlrev_b32_e32 v34, 2, v5
	v_and_b32_e32 v15, 15, v14
	v_and_b32_e32 v16, 16, v14
	v_cmp_gt_i32_e32 vcc_lo, 0, v18
	v_lshlrev_b32_e32 v33, 1, v5
	v_and_b32_e32 v20, 7, v14
	v_and_b32_e32 v17, 0xe0, v0
	v_mad_i32_i24 v29, 0xffffffe4, v0, v26
	v_lshrrev_b32_e32 v19, 3, v0
	v_cmp_gt_u32_e64 s12, 0x3a8, v0
	v_cmp_gt_u32_e64 s13, 0x2be, v0
	s_waitcnt lgkmcnt(0)
	s_add_u32 s16, s4, s8
	s_addc_u32 s17, s5, s9
	s_lshl_b64 s[0:1], s[2:3], 2
	v_cmp_eq_u32_e64 s2, 0, v14
	v_cndmask_b32_e32 v14, v18, v14, vcc_lo
	s_clause 0x1
	global_load_b128 v[1:4], v33, s[16:17]
	global_load_u16 v13, v33, s[16:17] offset:16
	s_add_u32 s18, s6, s0
	s_addc_u32 s19, s7, s1
	s_clause 0x2
	global_load_b32 v31, v34, s[18:19] offset:32
	global_load_b128 v[5:8], v34, s[18:19]
	global_load_b128 v[9:12], v34, s[18:19] offset:16
	v_cmp_eq_u32_e64 s3, 0, v15
	v_cmp_lt_u32_e64 s4, 1, v15
	v_cmp_lt_u32_e64 s5, 3, v15
	;; [unrolled: 1-line block ×3, first 2 shown]
	v_min_u32_e32 v15, 0xca, v17
	s_cmp_eq_u32 s20, 0
	v_mad_u32_u24 v27, v0, 14, v29
	s_cselect_b32 s15, -1, 0
	s_cmp_eq_u32 s21, 16
	v_add_nc_u32_e32 v15, 31, v15
	s_cselect_b32 s22, -1, 0
	v_cmp_gt_u32_e64 s0, 8, v0
	s_and_b32 s15, s15, s22
	v_cmp_lt_u32_e64 s1, 31, v0
	v_cmp_gt_u32_e64 s14, 0x1d4, v0
	v_cmp_eq_u32_e64 s7, 0, v16
	v_and_b32_e32 v28, 28, v19
	v_cmp_eq_u32_e64 s8, 0, v20
	v_cmp_lt_u32_e64 s9, 1, v20
	v_cmp_lt_u32_e64 s10, 3, v20
	v_lshlrev_b32_e32 v30, 2, v14
	v_cmp_eq_u32_e64 s11, v15, v0
	v_mad_u32_u24 v25, v0, 18, v27
	s_and_b32 vcc_lo, exec_lo, s15
	v_cmp_gt_u32_e64 s15, 0xea, v0
	s_mov_b32 s22, -1
	s_waitcnt vmcnt(4)
	v_xor_b32_e32 v1, 0x80008000, v1
	v_xor_b32_e32 v2, 0x80008000, v2
	;; [unrolled: 1-line block ×4, first 2 shown]
	s_waitcnt vmcnt(3)
	v_xor_b32_e32 v32, 0xffff8000, v13
	s_cbranch_vccnz .LBB36_17
; %bb.1:
	v_dual_mov_b32 v43, 0 :: v_dual_lshlrev_b32 v40, 2, v0
	s_waitcnt vmcnt(1)
	v_dual_mov_b32 v17, v5 :: v_dual_mov_b32 v18, v6
	s_delay_alu instid0(VALU_DEP_2)
	v_dual_mov_b32 v19, v7 :: v_dual_add_nc_u32 v46, 0x700, v40
	s_waitcnt vmcnt(0)
	v_dual_mov_b32 v20, v8 :: v_dual_mov_b32 v21, v9
	v_dual_mov_b32 v22, v10 :: v_dual_mov_b32 v23, v11
	;; [unrolled: 1-line block ×5, first 2 shown]
	v_mov_b32_e32 v74, v32
	s_sub_i32 s22, s21, s20
	s_branch .LBB36_3
.LBB36_2:                               ;   in Loop: Header=BB36_3 Depth=1
	v_lshl_add_u32 v17, v64, 1, v73
	v_lshl_add_u32 v18, v62, 1, v72
	;; [unrolled: 1-line block ×4, first 2 shown]
	s_barrier
	buffer_gl0_inv
	ds_store_b16 v73, v13
	ds_store_b16 v72, v48
	;; [unrolled: 1-line block ×9, first 2 shown]
	s_waitcnt lgkmcnt(0)
	s_barrier
	buffer_gl0_inv
	ds_load_b128 v[13:16], v27
	ds_load_u16 v74, v27 offset:16
	s_waitcnt lgkmcnt(0)
	s_barrier
	buffer_gl0_inv
	ds_store_b32 v17, v45
	ds_store_b32 v18, v44
	;; [unrolled: 1-line block ×4, first 2 shown]
	v_lshl_add_u32 v17, v56, 1, v69
	v_lshl_add_u32 v18, v55, 1, v67
	;; [unrolled: 1-line block ×5, first 2 shown]
	ds_store_b32 v17, v39
	ds_store_b32 v18, v38
	;; [unrolled: 1-line block ×5, first 2 shown]
	s_waitcnt lgkmcnt(0)
	s_barrier
	buffer_gl0_inv
	ds_load_2addr_b32 v[17:18], v25 offset1:1
	ds_load_2addr_b32 v[19:20], v25 offset0:2 offset1:3
	ds_load_2addr_b32 v[21:22], v25 offset0:4 offset1:5
	;; [unrolled: 1-line block ×3, first 2 shown]
	ds_load_b32 v75, v25 offset:32
	s_add_i32 s22, s22, -4
	s_waitcnt lgkmcnt(0)
	s_barrier
	buffer_gl0_inv
	s_cbranch_execz .LBB36_16
.LBB36_3:                               ; =>This Inner Loop Header: Depth=1
	s_delay_alu instid0(VALU_DEP_1)
	v_dual_mov_b32 v47, v74 :: v_dual_mov_b32 v36, v24
	v_dual_mov_b32 v35, v75 :: v_dual_mov_b32 v38, v22
	;; [unrolled: 1-line block ×4, first 2 shown]
	v_mov_b32_e32 v41, v20
	v_mov_b32_e32 v45, v17
	ds_store_2addr_b32 v40, v43, v43 offset1:234
	ds_store_2addr_b32 v46, v43, v43 offset0:20 offset1:254
	s_and_saveexec_b32 s23, s12
	s_cbranch_execz .LBB36_8
; %bb.4:                                ;   in Loop: Header=BB36_3 Depth=1
	ds_store_b32 v40, v43 offset:3744
	s_and_b32 exec_lo, exec_lo, s13
	s_cbranch_execz .LBB36_8
; %bb.5:                                ;   in Loop: Header=BB36_3 Depth=1
	ds_store_b32 v40, v43 offset:4680
	s_and_b32 exec_lo, exec_lo, s14
	;; [unrolled: 4-line block ×3, first 2 shown]
	s_cbranch_execz .LBB36_8
; %bb.7:                                ;   in Loop: Header=BB36_3 Depth=1
	ds_store_b32 v40, v43 offset:6552
.LBB36_8:                               ;   in Loop: Header=BB36_3 Depth=1
	s_or_b32 exec_lo, exec_lo, s23
	v_and_b32_e32 v17, 0xffff, v13
	s_min_u32 s23, s22, 4
	v_lshrrev_b32_e32 v48, 16, v13
	s_lshl_b32 s23, -1, s23
	v_and_b32_e32 v19, 0xffff, v14
	v_lshrrev_b32_e32 v17, s20, v17
	s_not_b32 s23, s23
	v_lshrrev_b32_e32 v49, 16, v14
	v_lshrrev_b32_e32 v50, 16, v15
	;; [unrolled: 1-line block ×3, first 2 shown]
	v_and_b32_e32 v17, s23, v17
	s_delay_alu instid0(VALU_DEP_1) | instskip(SKIP_1) | instid1(VALU_DEP_2)
	v_and_b32_e32 v18, 7, v17
	v_lshrrev_b32_e32 v17, 3, v17
	v_mul_u32_u24_e32 v18, 0xea, v18
	s_delay_alu instid0(VALU_DEP_1) | instskip(NEXT) | instid1(VALU_DEP_1)
	v_add_lshl_u32 v18, v18, v0, 1
	v_add_lshl_u32 v54, v18, v17, 1
	v_lshrrev_b32_e32 v17, s20, v48
	ds_load_u16 v52, v54
	v_and_b32_e32 v17, s23, v17
	s_delay_alu instid0(VALU_DEP_1) | instskip(SKIP_1) | instid1(VALU_DEP_2)
	v_and_b32_e32 v18, 7, v17
	v_lshrrev_b32_e32 v17, 3, v17
	v_mul_u32_u24_e32 v18, 0xea, v18
	s_delay_alu instid0(VALU_DEP_1) | instskip(SKIP_2) | instid1(VALU_DEP_2)
	v_add_lshl_u32 v18, v18, v0, 1
	s_waitcnt lgkmcnt(0)
	v_add_nc_u16 v20, v52, 1
	v_add_lshl_u32 v55, v18, v17, 1
	v_lshrrev_b32_e32 v17, s20, v19
	ds_store_b16 v54, v20
	ds_load_u16 v53, v55
	v_and_b32_e32 v17, s23, v17
	s_delay_alu instid0(VALU_DEP_1) | instskip(SKIP_1) | instid1(VALU_DEP_2)
	v_and_b32_e32 v18, 7, v17
	v_lshrrev_b32_e32 v17, 3, v17
	v_mul_u32_u24_e32 v18, 0xea, v18
	s_delay_alu instid0(VALU_DEP_1) | instskip(SKIP_2) | instid1(VALU_DEP_2)
	v_add_lshl_u32 v18, v18, v0, 1
	s_waitcnt lgkmcnt(0)
	v_add_nc_u16 v19, v53, 1
	v_add_lshl_u32 v60, v18, v17, 1
	v_lshrrev_b32_e32 v17, s20, v49
	ds_store_b16 v55, v19
	ds_load_u16 v56, v60
	v_and_b32_e32 v17, s23, v17
	v_and_b32_e32 v19, 0xffff, v15
	s_delay_alu instid0(VALU_DEP_2) | instskip(SKIP_1) | instid1(VALU_DEP_2)
	v_and_b32_e32 v18, 7, v17
	v_lshrrev_b32_e32 v17, 3, v17
	v_mul_u32_u24_e32 v18, 0xea, v18
	s_delay_alu instid0(VALU_DEP_1) | instskip(SKIP_2) | instid1(VALU_DEP_2)
	v_add_lshl_u32 v18, v18, v0, 1
	s_waitcnt lgkmcnt(0)
	v_add_nc_u16 v20, v56, 1
	v_add_lshl_u32 v62, v18, v17, 1
	v_lshrrev_b32_e32 v17, s20, v19
	ds_store_b16 v60, v20
	ds_load_u16 v61, v62
	v_and_b32_e32 v17, s23, v17
	s_delay_alu instid0(VALU_DEP_1) | instskip(SKIP_1) | instid1(VALU_DEP_2)
	v_and_b32_e32 v18, 7, v17
	v_lshrrev_b32_e32 v17, 3, v17
	v_mul_u32_u24_e32 v18, 0xea, v18
	s_delay_alu instid0(VALU_DEP_1) | instskip(SKIP_2) | instid1(VALU_DEP_2)
	v_add_lshl_u32 v18, v18, v0, 1
	s_waitcnt lgkmcnt(0)
	v_add_nc_u16 v19, v61, 1
	v_add_lshl_u32 v64, v18, v17, 1
	v_lshrrev_b32_e32 v17, s20, v50
	ds_store_b16 v62, v19
	ds_load_u16 v63, v64
	v_and_b32_e32 v17, s23, v17
	v_and_b32_e32 v19, 0xffff, v16
	s_delay_alu instid0(VALU_DEP_2) | instskip(SKIP_1) | instid1(VALU_DEP_2)
	v_and_b32_e32 v18, 7, v17
	v_lshrrev_b32_e32 v17, 3, v17
	v_mul_u32_u24_e32 v18, 0xea, v18
	s_delay_alu instid0(VALU_DEP_1) | instskip(SKIP_2) | instid1(VALU_DEP_2)
	v_add_lshl_u32 v18, v18, v0, 1
	s_waitcnt lgkmcnt(0)
	v_add_nc_u16 v20, v63, 1
	v_add_lshl_u32 v66, v18, v17, 1
	v_lshrrev_b32_e32 v17, s20, v19
	ds_store_b16 v64, v20
	ds_load_u16 v65, v66
	v_and_b32_e32 v17, s23, v17
	s_delay_alu instid0(VALU_DEP_1) | instskip(SKIP_1) | instid1(VALU_DEP_2)
	v_and_b32_e32 v18, 7, v17
	v_lshrrev_b32_e32 v17, 3, v17
	v_mul_u32_u24_e32 v18, 0xea, v18
	s_delay_alu instid0(VALU_DEP_1) | instskip(SKIP_2) | instid1(VALU_DEP_2)
	v_add_lshl_u32 v18, v18, v0, 1
	s_waitcnt lgkmcnt(0)
	v_add_nc_u16 v19, v65, 1
	v_add_lshl_u32 v68, v18, v17, 1
	v_lshrrev_b32_e32 v17, s20, v51
	ds_store_b16 v66, v19
	ds_load_u16 v67, v68
	v_and_b32_e32 v17, s23, v17
	v_and_b32_e32 v19, 0xffff, v47
	s_delay_alu instid0(VALU_DEP_2) | instskip(SKIP_1) | instid1(VALU_DEP_2)
	v_and_b32_e32 v18, 7, v17
	v_lshrrev_b32_e32 v17, 3, v17
	v_mul_u32_u24_e32 v18, 0xea, v18
	s_delay_alu instid0(VALU_DEP_1) | instskip(SKIP_2) | instid1(VALU_DEP_2)
	v_add_lshl_u32 v18, v18, v0, 1
	s_waitcnt lgkmcnt(0)
	v_add_nc_u16 v20, v67, 1
	v_add_lshl_u32 v70, v18, v17, 1
	v_lshrrev_b32_e32 v17, s20, v19
	ds_store_b16 v68, v20
	ds_load_u16 v69, v70
	v_and_b32_e32 v17, s23, v17
	s_delay_alu instid0(VALU_DEP_1) | instskip(SKIP_1) | instid1(VALU_DEP_2)
	v_and_b32_e32 v18, 7, v17
	v_lshrrev_b32_e32 v17, 3, v17
	v_mul_u32_u24_e32 v18, 0xea, v18
	s_delay_alu instid0(VALU_DEP_1) | instskip(SKIP_2) | instid1(VALU_DEP_2)
	v_add_lshl_u32 v18, v18, v0, 1
	s_waitcnt lgkmcnt(0)
	v_add_nc_u16 v19, v69, 1
	v_add_lshl_u32 v72, v18, v17, 1
	ds_store_b16 v70, v19
	ds_load_u16 v71, v72
	s_waitcnt lgkmcnt(0)
	v_add_nc_u16 v17, v71, 1
	ds_store_b16 v72, v17
	s_waitcnt lgkmcnt(0)
	s_barrier
	buffer_gl0_inv
	ds_load_2addr_b64 v[21:24], v26 offset1:1
	ds_load_2addr_b64 v[17:20], v26 offset0:2 offset1:3
	s_waitcnt lgkmcnt(1)
	v_add_nc_u32_e32 v57, v22, v21
	s_delay_alu instid0(VALU_DEP_1) | instskip(SKIP_1) | instid1(VALU_DEP_1)
	v_add3_u32 v57, v57, v23, v24
	s_waitcnt lgkmcnt(0)
	v_add3_u32 v57, v57, v17, v18
	s_delay_alu instid0(VALU_DEP_1) | instskip(NEXT) | instid1(VALU_DEP_1)
	v_add3_u32 v20, v57, v19, v20
	v_mov_b32_dpp v57, v20 row_shr:1 row_mask:0xf bank_mask:0xf
	s_delay_alu instid0(VALU_DEP_1) | instskip(NEXT) | instid1(VALU_DEP_1)
	v_cndmask_b32_e64 v57, v57, 0, s3
	v_add_nc_u32_e32 v20, v57, v20
	s_delay_alu instid0(VALU_DEP_1) | instskip(NEXT) | instid1(VALU_DEP_1)
	v_mov_b32_dpp v57, v20 row_shr:2 row_mask:0xf bank_mask:0xf
	v_cndmask_b32_e64 v57, 0, v57, s4
	s_delay_alu instid0(VALU_DEP_1) | instskip(NEXT) | instid1(VALU_DEP_1)
	v_add_nc_u32_e32 v20, v20, v57
	v_mov_b32_dpp v57, v20 row_shr:4 row_mask:0xf bank_mask:0xf
	s_delay_alu instid0(VALU_DEP_1) | instskip(NEXT) | instid1(VALU_DEP_1)
	v_cndmask_b32_e64 v57, 0, v57, s5
	v_add_nc_u32_e32 v20, v20, v57
	s_delay_alu instid0(VALU_DEP_1) | instskip(NEXT) | instid1(VALU_DEP_1)
	v_mov_b32_dpp v57, v20 row_shr:8 row_mask:0xf bank_mask:0xf
	v_cndmask_b32_e64 v57, 0, v57, s6
	s_delay_alu instid0(VALU_DEP_1) | instskip(SKIP_3) | instid1(VALU_DEP_1)
	v_add_nc_u32_e32 v20, v20, v57
	ds_swizzle_b32 v57, v20 offset:swizzle(BROADCAST,32,15)
	s_waitcnt lgkmcnt(0)
	v_cndmask_b32_e64 v57, v57, 0, s7
	v_add_nc_u32_e32 v20, v20, v57
	s_and_saveexec_b32 s23, s11
	s_cbranch_execz .LBB36_10
; %bb.9:                                ;   in Loop: Header=BB36_3 Depth=1
	ds_store_b32 v28, v20 offset:7488
.LBB36_10:                              ;   in Loop: Header=BB36_3 Depth=1
	s_or_b32 exec_lo, exec_lo, s23
	s_waitcnt lgkmcnt(0)
	s_barrier
	buffer_gl0_inv
	s_and_saveexec_b32 s23, s0
	s_cbranch_execz .LBB36_12
; %bb.11:                               ;   in Loop: Header=BB36_3 Depth=1
	ds_load_b32 v57, v29 offset:7488
	s_waitcnt lgkmcnt(0)
	v_mov_b32_dpp v58, v57 row_shr:1 row_mask:0xf bank_mask:0xf
	s_delay_alu instid0(VALU_DEP_1) | instskip(NEXT) | instid1(VALU_DEP_1)
	v_cndmask_b32_e64 v58, v58, 0, s8
	v_add_nc_u32_e32 v57, v58, v57
	s_delay_alu instid0(VALU_DEP_1) | instskip(NEXT) | instid1(VALU_DEP_1)
	v_mov_b32_dpp v58, v57 row_shr:2 row_mask:0xf bank_mask:0xf
	v_cndmask_b32_e64 v58, 0, v58, s9
	s_delay_alu instid0(VALU_DEP_1) | instskip(NEXT) | instid1(VALU_DEP_1)
	v_add_nc_u32_e32 v57, v57, v58
	v_mov_b32_dpp v58, v57 row_shr:4 row_mask:0xf bank_mask:0xf
	s_delay_alu instid0(VALU_DEP_1) | instskip(NEXT) | instid1(VALU_DEP_1)
	v_cndmask_b32_e64 v58, 0, v58, s10
	v_add_nc_u32_e32 v57, v57, v58
	ds_store_b32 v29, v57 offset:7488
.LBB36_12:                              ;   in Loop: Header=BB36_3 Depth=1
	s_or_b32 exec_lo, exec_lo, s23
	v_mov_b32_e32 v57, 0
	s_waitcnt lgkmcnt(0)
	s_barrier
	buffer_gl0_inv
	s_and_saveexec_b32 s23, s1
	s_cbranch_execz .LBB36_14
; %bb.13:                               ;   in Loop: Header=BB36_3 Depth=1
	ds_load_b32 v57, v28 offset:7484
.LBB36_14:                              ;   in Loop: Header=BB36_3 Depth=1
	s_or_b32 exec_lo, exec_lo, s23
	s_waitcnt lgkmcnt(0)
	v_add_nc_u32_e32 v20, v57, v20
	ds_load_b32 v58, v43 offset:7516
	v_dual_mov_b32 v59, v13 :: v_dual_and_b32 v52, 0xffff, v52
	v_and_b32_e32 v53, 0xffff, v53
	ds_bpermute_b32 v20, v30, v20
	s_add_i32 s20, s20, 4
	s_delay_alu instid0(SALU_CYCLE_1) | instskip(SKIP_3) | instid1(VALU_DEP_2)
	s_cmp_ge_u32 s20, s21
	s_waitcnt lgkmcnt(0)
	v_cndmask_b32_e64 v20, v20, v57, s2
	v_mov_b32_e32 v57, v15
	v_lshl_add_u32 v20, v58, 16, v20
	s_delay_alu instid0(VALU_DEP_1) | instskip(NEXT) | instid1(VALU_DEP_1)
	v_dual_mov_b32 v58, v14 :: v_dual_add_nc_u32 v21, v20, v21
	v_add_nc_u32_e32 v22, v21, v22
	s_delay_alu instid0(VALU_DEP_1) | instskip(NEXT) | instid1(VALU_DEP_1)
	v_add_nc_u32_e32 v23, v22, v23
	v_add_nc_u32_e32 v73, v23, v24
	s_delay_alu instid0(VALU_DEP_1) | instskip(NEXT) | instid1(VALU_DEP_1)
	v_add_nc_u32_e32 v74, v73, v17
	v_add_nc_u32_e32 v17, v74, v18
	s_delay_alu instid0(VALU_DEP_1)
	v_add_nc_u32_e32 v18, v17, v19
	ds_store_2addr_b64 v26, v[20:21], v[22:23] offset1:1
	ds_store_2addr_b64 v26, v[73:74], v[17:18] offset0:2 offset1:3
	s_waitcnt lgkmcnt(0)
	s_barrier
	buffer_gl0_inv
	ds_load_u16 v17, v54
	ds_load_u16 v18, v55
	;; [unrolled: 1-line block ×9, first 2 shown]
	v_mov_b32_e32 v68, v16
	v_and_b32_e32 v54, 0xffff, v56
	v_and_b32_e32 v55, 0xffff, v61
	;; [unrolled: 1-line block ×7, first 2 shown]
	s_waitcnt lgkmcnt(0)
	v_add_nc_u32_e32 v64, v17, v52
	v_add_nc_u32_e32 v62, v18, v53
	;; [unrolled: 1-line block ×9, first 2 shown]
	v_lshlrev_b32_e32 v73, 1, v64
	v_lshlrev_b32_e32 v72, 1, v62
	;; [unrolled: 1-line block ×9, first 2 shown]
	s_cbranch_scc0 .LBB36_2
; %bb.15:
                                        ; implicit-def: $vgpr74
                                        ; implicit-def: $vgpr16
                                        ; implicit-def: $vgpr75
                                        ; implicit-def: $vgpr24
                                        ; implicit-def: $vgpr22
                                        ; implicit-def: $vgpr20
                                        ; implicit-def: $vgpr18
                                        ; implicit-def: $sgpr22
.LBB36_16:
	s_barrier
	buffer_gl0_inv
	ds_store_b16 v73, v59
	ds_store_b16 v72, v48
	;; [unrolled: 1-line block ×9, first 2 shown]
	s_waitcnt lgkmcnt(0)
	s_barrier
	buffer_gl0_inv
	ds_load_b128 v[13:16], v27
	ds_load_u16 v40, v27 offset:16
	v_lshl_add_u32 v17, v64, 1, v73
	v_lshl_add_u32 v18, v62, 1, v72
	;; [unrolled: 1-line block ×4, first 2 shown]
	s_waitcnt lgkmcnt(0)
	s_barrier
	buffer_gl0_inv
	ds_store_b32 v17, v45
	ds_store_b32 v18, v44
	;; [unrolled: 1-line block ×4, first 2 shown]
	v_lshl_add_u32 v17, v56, 1, v69
	v_lshl_add_u32 v18, v55, 1, v67
	;; [unrolled: 1-line block ×5, first 2 shown]
	ds_store_b32 v17, v39
	ds_store_b32 v18, v38
	ds_store_b32 v19, v37
	ds_store_b32 v20, v36
	ds_store_b32 v21, v35
	s_waitcnt lgkmcnt(0)
	s_mov_b32 s22, 0
	s_barrier
	s_branch .LBB36_18
.LBB36_17:
                                        ; implicit-def: $vgpr40
                                        ; implicit-def: $vgpr16
.LBB36_18:
	v_add_co_u32 v19, s12, s16, v33
	s_delay_alu instid0(VALU_DEP_1) | instskip(SKIP_1) | instid1(VALU_DEP_1)
	v_add_co_ci_u32_e64 v20, null, s17, 0, s12
	v_add_co_u32 v17, s12, s18, v34
	v_add_co_ci_u32_e64 v18, null, s19, 0, s12
	s_and_b32 vcc_lo, exec_lo, s22
	s_cbranch_vccz .LBB36_35
; %bb.19:
	v_sub_nc_u32_e32 v13, 0, v26
	v_cmp_gt_u32_e64 s12, 0x3a8, v0
	v_cmp_gt_u32_e64 s13, 0x2be, v0
	;; [unrolled: 1-line block ×4, first 2 shown]
	v_dual_mov_b32 v15, 0 :: v_dual_add_nc_u32 v14, v25, v13
	s_mov_b32 s16, 0
	s_delay_alu instid0(VALU_DEP_1)
	v_add_nc_u32_e32 v16, 0x700, v14
	s_branch .LBB36_21
.LBB36_20:                              ;   in Loop: Header=BB36_21 Depth=1
	v_lshlrev_b32_e32 v5, 1, v54
	v_lshlrev_b32_e32 v6, 1, v53
	;; [unrolled: 1-line block ×4, first 2 shown]
	s_barrier
	buffer_gl0_inv
	ds_store_b16 v5, v1
	ds_store_b16 v6, v38
	;; [unrolled: 1-line block ×4, first 2 shown]
	v_lshlrev_b32_e32 v9, 1, v50
	v_add_nc_u32_e32 v5, v5, v5
	v_lshlrev_b32_e32 v10, 1, v49
	v_add_nc_u32_e32 v6, v6, v6
	;; [unrolled: 2-line block ×4, first 2 shown]
	v_lshlrev_b32_e32 v31, 1, v45
	ds_store_b16 v9, v3
	ds_store_b16 v10, v40
	;; [unrolled: 1-line block ×5, first 2 shown]
	s_waitcnt lgkmcnt(0)
	s_barrier
	buffer_gl0_inv
	ds_load_b128 v[1:4], v27
	ds_load_u16 v32, v27 offset:16
	s_waitcnt lgkmcnt(0)
	s_barrier
	buffer_gl0_inv
	ds_store_b32 v5, v37
	ds_store_b32 v6, v36
	;; [unrolled: 1-line block ×4, first 2 shown]
	v_add_nc_u32_e32 v5, v9, v9
	v_add_nc_u32_e32 v6, v10, v10
	;; [unrolled: 1-line block ×5, first 2 shown]
	ds_store_b32 v5, v33
	ds_store_b32 v6, v24
	;; [unrolled: 1-line block ×5, first 2 shown]
	s_waitcnt lgkmcnt(0)
	s_barrier
	buffer_gl0_inv
	ds_load_2addr_b32 v[5:6], v25 offset1:1
	ds_load_2addr_b32 v[7:8], v25 offset0:2 offset1:3
	ds_load_2addr_b32 v[9:10], v25 offset0:4 offset1:5
	;; [unrolled: 1-line block ×3, first 2 shown]
	ds_load_b32 v31, v25 offset:32
	s_add_i32 s16, s16, 4
	s_waitcnt lgkmcnt(0)
	s_barrier
	buffer_gl0_inv
	s_cbranch_execz .LBB36_34
.LBB36_21:                              ; =>This Inner Loop Header: Depth=1
	s_waitcnt vmcnt(0)
	v_dual_mov_b32 v13, v32 :: v_dual_mov_b32 v24, v10
	v_dual_mov_b32 v21, v31 :: v_dual_mov_b32 v22, v12
	;; [unrolled: 1-line block ×4, first 2 shown]
	v_mov_b32_e32 v35, v7
	v_mov_b32_e32 v37, v5
	ds_store_2addr_b32 v14, v15, v15 offset1:234
	ds_store_2addr_b32 v16, v15, v15 offset0:20 offset1:254
	s_and_saveexec_b32 s17, s12
	s_cbranch_execz .LBB36_26
; %bb.22:                               ;   in Loop: Header=BB36_21 Depth=1
	ds_store_b32 v14, v15 offset:3744
	s_and_b32 exec_lo, exec_lo, s13
	s_cbranch_execz .LBB36_26
; %bb.23:                               ;   in Loop: Header=BB36_21 Depth=1
	ds_store_b32 v14, v15 offset:4680
	s_and_b32 exec_lo, exec_lo, s14
	;; [unrolled: 4-line block ×3, first 2 shown]
	s_cbranch_execz .LBB36_26
; %bb.25:                               ;   in Loop: Header=BB36_21 Depth=1
	ds_store_b32 v14, v15 offset:6552
.LBB36_26:                              ;   in Loop: Header=BB36_21 Depth=1
	s_or_b32 exec_lo, exec_lo, s17
	v_and_b32_e32 v5, 0xffff, v1
	v_lshrrev_b32_e32 v38, 16, v1
	v_lshrrev_b32_e32 v39, 16, v2
	;; [unrolled: 1-line block ×5, first 2 shown]
	v_bfe_u32 v5, v5, s16, 3
	s_delay_alu instid0(VALU_DEP_2) | instskip(NEXT) | instid1(VALU_DEP_2)
	v_lshrrev_b32_e32 v6, 2, v6
	v_mad_u32_u24 v5, 0xea, v5, v0
	s_delay_alu instid0(VALU_DEP_2) | instskip(NEXT) | instid1(VALU_DEP_1)
	v_and_b32_e32 v6, 2, v6
	v_lshl_or_b32 v44, v5, 2, v6
	v_lshrrev_b32_e32 v5, s16, v38
	v_bfe_u32 v6, v38, s16, 3
	ds_load_u16 v31, v44
	v_lshrrev_b32_e32 v5, 2, v5
	v_mad_u32_u24 v6, 0xea, v6, v0
	s_delay_alu instid0(VALU_DEP_2) | instskip(NEXT) | instid1(VALU_DEP_1)
	v_and_b32_e32 v5, 2, v5
	v_lshl_or_b32 v46, v6, 2, v5
	v_and_b32_e32 v5, 0xffff, v2
	s_delay_alu instid0(VALU_DEP_1) | instskip(SKIP_3) | instid1(VALU_DEP_3)
	v_lshrrev_b32_e32 v6, s16, v5
	v_bfe_u32 v5, v5, s16, 3
	s_waitcnt lgkmcnt(0)
	v_add_nc_u16 v7, v31, 1
	v_lshrrev_b32_e32 v6, 2, v6
	s_delay_alu instid0(VALU_DEP_3) | instskip(SKIP_3) | instid1(VALU_DEP_1)
	v_mad_u32_u24 v5, 0xea, v5, v0
	ds_store_b16 v44, v7
	ds_load_u16 v32, v46
	v_and_b32_e32 v6, 2, v6
	v_lshl_or_b32 v48, v5, 2, v6
	v_lshrrev_b32_e32 v5, s16, v39
	v_bfe_u32 v6, v39, s16, 3
	s_delay_alu instid0(VALU_DEP_2) | instskip(NEXT) | instid1(VALU_DEP_2)
	v_lshrrev_b32_e32 v5, 2, v5
	v_mad_u32_u24 v6, 0xea, v6, v0
	s_delay_alu instid0(VALU_DEP_2) | instskip(SKIP_2) | instid1(VALU_DEP_2)
	v_and_b32_e32 v5, 2, v5
	s_waitcnt lgkmcnt(0)
	v_add_nc_u16 v7, v32, 1
	v_lshl_or_b32 v50, v6, 2, v5
	v_and_b32_e32 v5, 0xffff, v3
	ds_store_b16 v46, v7
	ds_load_u16 v45, v48
	v_lshrrev_b32_e32 v6, s16, v5
	v_bfe_u32 v5, v5, s16, 3
	s_delay_alu instid0(VALU_DEP_2) | instskip(NEXT) | instid1(VALU_DEP_2)
	v_lshrrev_b32_e32 v6, 2, v6
	v_mad_u32_u24 v5, 0xea, v5, v0
	s_delay_alu instid0(VALU_DEP_2) | instskip(NEXT) | instid1(VALU_DEP_1)
	v_and_b32_e32 v6, 2, v6
	v_lshl_or_b32 v52, v5, 2, v6
	v_lshrrev_b32_e32 v5, s16, v40
	v_bfe_u32 v6, v40, s16, 3
	s_waitcnt lgkmcnt(0)
	v_add_nc_u16 v7, v45, 1
	s_delay_alu instid0(VALU_DEP_3) | instskip(NEXT) | instid1(VALU_DEP_3)
	v_lshrrev_b32_e32 v5, 2, v5
	v_mad_u32_u24 v6, 0xea, v6, v0
	ds_store_b16 v48, v7
	ds_load_u16 v47, v50
	v_and_b32_e32 v5, 2, v5
	s_delay_alu instid0(VALU_DEP_1) | instskip(SKIP_1) | instid1(VALU_DEP_1)
	v_lshl_or_b32 v53, v6, 2, v5
	v_and_b32_e32 v5, 0xffff, v4
	v_lshrrev_b32_e32 v6, s16, v5
	v_bfe_u32 v5, v5, s16, 3
	s_delay_alu instid0(VALU_DEP_2) | instskip(NEXT) | instid1(VALU_DEP_2)
	v_lshrrev_b32_e32 v6, 2, v6
	v_mad_u32_u24 v5, 0xea, v5, v0
	s_waitcnt lgkmcnt(0)
	v_add_nc_u16 v7, v47, 1
	s_delay_alu instid0(VALU_DEP_3)
	v_and_b32_e32 v6, 2, v6
	ds_store_b16 v50, v7
	ds_load_u16 v49, v52
	v_lshl_or_b32 v55, v5, 2, v6
	v_lshrrev_b32_e32 v5, s16, v41
	v_bfe_u32 v6, v41, s16, 3
	s_delay_alu instid0(VALU_DEP_2) | instskip(NEXT) | instid1(VALU_DEP_2)
	v_lshrrev_b32_e32 v5, 2, v5
	v_mad_u32_u24 v6, 0xea, v6, v0
	s_delay_alu instid0(VALU_DEP_2) | instskip(NEXT) | instid1(VALU_DEP_1)
	v_and_b32_e32 v5, 2, v5
	v_lshl_or_b32 v57, v6, 2, v5
	v_and_b32_e32 v5, 0xffff, v13
	s_waitcnt lgkmcnt(0)
	v_add_nc_u16 v7, v49, 1
	s_delay_alu instid0(VALU_DEP_2) | instskip(SKIP_4) | instid1(VALU_DEP_2)
	v_lshrrev_b32_e32 v6, s16, v5
	ds_store_b16 v52, v7
	ds_load_u16 v51, v53
	v_bfe_u32 v5, v5, s16, 3
	v_lshrrev_b32_e32 v6, 2, v6
	v_mad_u32_u24 v5, 0xea, v5, v0
	s_delay_alu instid0(VALU_DEP_2) | instskip(NEXT) | instid1(VALU_DEP_1)
	v_and_b32_e32 v6, 2, v6
	v_lshl_or_b32 v59, v5, 2, v6
	s_waitcnt lgkmcnt(0)
	v_add_nc_u16 v7, v51, 1
	ds_store_b16 v53, v7
	ds_load_u16 v54, v55
	s_waitcnt lgkmcnt(0)
	v_add_nc_u16 v7, v54, 1
	ds_store_b16 v55, v7
	ds_load_u16 v56, v57
	s_waitcnt lgkmcnt(0)
	v_add_nc_u16 v7, v56, 1
	ds_store_b16 v57, v7
	ds_load_u16 v58, v59
	s_waitcnt lgkmcnt(0)
	v_add_nc_u16 v5, v58, 1
	ds_store_b16 v59, v5
	s_waitcnt lgkmcnt(0)
	s_barrier
	buffer_gl0_inv
	ds_load_2addr_b64 v[9:12], v26 offset1:1
	ds_load_2addr_b64 v[5:8], v26 offset0:2 offset1:3
	s_waitcnt lgkmcnt(1)
	v_add_nc_u32_e32 v42, v10, v9
	s_delay_alu instid0(VALU_DEP_1) | instskip(SKIP_1) | instid1(VALU_DEP_1)
	v_add3_u32 v42, v42, v11, v12
	s_waitcnt lgkmcnt(0)
	v_add3_u32 v42, v42, v5, v6
	s_delay_alu instid0(VALU_DEP_1) | instskip(NEXT) | instid1(VALU_DEP_1)
	v_add3_u32 v8, v42, v7, v8
	v_mov_b32_dpp v42, v8 row_shr:1 row_mask:0xf bank_mask:0xf
	s_delay_alu instid0(VALU_DEP_1) | instskip(NEXT) | instid1(VALU_DEP_1)
	v_cndmask_b32_e64 v42, v42, 0, s3
	v_add_nc_u32_e32 v8, v42, v8
	s_delay_alu instid0(VALU_DEP_1) | instskip(NEXT) | instid1(VALU_DEP_1)
	v_mov_b32_dpp v42, v8 row_shr:2 row_mask:0xf bank_mask:0xf
	v_cndmask_b32_e64 v42, 0, v42, s4
	s_delay_alu instid0(VALU_DEP_1) | instskip(NEXT) | instid1(VALU_DEP_1)
	v_add_nc_u32_e32 v8, v8, v42
	v_mov_b32_dpp v42, v8 row_shr:4 row_mask:0xf bank_mask:0xf
	s_delay_alu instid0(VALU_DEP_1) | instskip(NEXT) | instid1(VALU_DEP_1)
	v_cndmask_b32_e64 v42, 0, v42, s5
	v_add_nc_u32_e32 v8, v8, v42
	s_delay_alu instid0(VALU_DEP_1) | instskip(NEXT) | instid1(VALU_DEP_1)
	v_mov_b32_dpp v42, v8 row_shr:8 row_mask:0xf bank_mask:0xf
	v_cndmask_b32_e64 v42, 0, v42, s6
	s_delay_alu instid0(VALU_DEP_1) | instskip(SKIP_3) | instid1(VALU_DEP_1)
	v_add_nc_u32_e32 v8, v8, v42
	ds_swizzle_b32 v42, v8 offset:swizzle(BROADCAST,32,15)
	s_waitcnt lgkmcnt(0)
	v_cndmask_b32_e64 v42, v42, 0, s7
	v_add_nc_u32_e32 v8, v8, v42
	s_and_saveexec_b32 s17, s11
	s_cbranch_execz .LBB36_28
; %bb.27:                               ;   in Loop: Header=BB36_21 Depth=1
	ds_store_b32 v28, v8 offset:7488
.LBB36_28:                              ;   in Loop: Header=BB36_21 Depth=1
	s_or_b32 exec_lo, exec_lo, s17
	s_waitcnt lgkmcnt(0)
	s_barrier
	buffer_gl0_inv
	s_and_saveexec_b32 s17, s0
	s_cbranch_execz .LBB36_30
; %bb.29:                               ;   in Loop: Header=BB36_21 Depth=1
	ds_load_b32 v42, v29 offset:7488
	s_waitcnt lgkmcnt(0)
	v_mov_b32_dpp v43, v42 row_shr:1 row_mask:0xf bank_mask:0xf
	s_delay_alu instid0(VALU_DEP_1) | instskip(NEXT) | instid1(VALU_DEP_1)
	v_cndmask_b32_e64 v43, v43, 0, s8
	v_add_nc_u32_e32 v42, v43, v42
	s_delay_alu instid0(VALU_DEP_1) | instskip(NEXT) | instid1(VALU_DEP_1)
	v_mov_b32_dpp v43, v42 row_shr:2 row_mask:0xf bank_mask:0xf
	v_cndmask_b32_e64 v43, 0, v43, s9
	s_delay_alu instid0(VALU_DEP_1) | instskip(NEXT) | instid1(VALU_DEP_1)
	v_add_nc_u32_e32 v42, v42, v43
	v_mov_b32_dpp v43, v42 row_shr:4 row_mask:0xf bank_mask:0xf
	s_delay_alu instid0(VALU_DEP_1) | instskip(NEXT) | instid1(VALU_DEP_1)
	v_cndmask_b32_e64 v43, 0, v43, s10
	v_add_nc_u32_e32 v42, v42, v43
	ds_store_b32 v29, v42 offset:7488
.LBB36_30:                              ;   in Loop: Header=BB36_21 Depth=1
	s_or_b32 exec_lo, exec_lo, s17
	v_mov_b32_e32 v42, 0
	s_waitcnt lgkmcnt(0)
	s_barrier
	buffer_gl0_inv
	s_and_saveexec_b32 s17, s1
	s_cbranch_execz .LBB36_32
; %bb.31:                               ;   in Loop: Header=BB36_21 Depth=1
	ds_load_b32 v42, v28 offset:7484
.LBB36_32:                              ;   in Loop: Header=BB36_21 Depth=1
	s_or_b32 exec_lo, exec_lo, s17
	s_waitcnt lgkmcnt(0)
	v_add_nc_u32_e32 v8, v42, v8
	ds_load_b32 v43, v15 offset:7516
	v_and_b32_e32 v31, 0xffff, v31
	v_and_b32_e32 v32, 0xffff, v32
	;; [unrolled: 1-line block ×3, first 2 shown]
	ds_bpermute_b32 v8, v30, v8
	v_and_b32_e32 v47, 0xffff, v47
	v_and_b32_e32 v56, 0xffff, v56
	;; [unrolled: 1-line block ×3, first 2 shown]
	s_cmp_gt_u32 s16, 11
	s_waitcnt lgkmcnt(0)
	v_cndmask_b32_e64 v8, v8, v42, s2
	v_mov_b32_e32 v42, v2
	s_delay_alu instid0(VALU_DEP_2) | instskip(SKIP_1) | instid1(VALU_DEP_2)
	v_lshl_add_u32 v8, v43, 16, v8
	v_mov_b32_e32 v43, v1
	v_add_nc_u32_e32 v9, v8, v9
	s_delay_alu instid0(VALU_DEP_1) | instskip(NEXT) | instid1(VALU_DEP_1)
	v_add_nc_u32_e32 v10, v9, v10
	v_add_nc_u32_e32 v11, v10, v11
	s_delay_alu instid0(VALU_DEP_1) | instskip(NEXT) | instid1(VALU_DEP_1)
	v_add_nc_u32_e32 v60, v11, v12
	;; [unrolled: 3-line block ×3, first 2 shown]
	v_add_nc_u32_e32 v6, v5, v7
	ds_store_2addr_b64 v26, v[8:9], v[10:11] offset1:1
	ds_store_2addr_b64 v26, v[60:61], v[5:6] offset0:2 offset1:3
	s_waitcnt lgkmcnt(0)
	s_barrier
	buffer_gl0_inv
	ds_load_u16 v5, v44
	ds_load_u16 v6, v46
	;; [unrolled: 1-line block ×9, first 2 shown]
	v_mov_b32_e32 v44, v4
	v_and_b32_e32 v48, 0xffff, v49
	v_and_b32_e32 v49, 0xffff, v51
	v_dual_mov_b32 v46, v3 :: v_dual_and_b32 v57, 0xffff, v54
	s_waitcnt lgkmcnt(8)
	v_add_nc_u32_e32 v54, v5, v31
	s_waitcnt lgkmcnt(7)
	v_add_nc_u32_e32 v53, v6, v32
	;; [unrolled: 2-line block ×9, first 2 shown]
	s_cbranch_scc0 .LBB36_20
; %bb.33:
                                        ; implicit-def: $vgpr32
                                        ; implicit-def: $vgpr4
                                        ; implicit-def: $vgpr31
                                        ; implicit-def: $vgpr12
                                        ; implicit-def: $vgpr8
                                        ; implicit-def: $sgpr16
.LBB36_34:
	v_lshlrev_b32_e32 v0, 1, v54
	v_lshlrev_b32_e32 v4, 1, v50
	;; [unrolled: 1-line block ×9, first 2 shown]
	s_barrier
	buffer_gl0_inv
	ds_store_b16 v0, v43
	ds_store_b16 v1, v38
	;; [unrolled: 1-line block ×9, first 2 shown]
	s_waitcnt lgkmcnt(0)
	s_barrier
	buffer_gl0_inv
	ds_load_b128 v[13:16], v27
	ds_load_u16 v40, v27 offset:16
	v_add_nc_u32_e32 v0, v0, v0
	v_add_nc_u32_e32 v1, v1, v1
	;; [unrolled: 1-line block ×4, first 2 shown]
	s_waitcnt lgkmcnt(0)
	s_barrier
	buffer_gl0_inv
	ds_store_b32 v0, v37
	ds_store_b32 v1, v36
	;; [unrolled: 1-line block ×4, first 2 shown]
	v_add_nc_u32_e32 v0, v4, v4
	v_add_nc_u32_e32 v1, v5, v5
	;; [unrolled: 1-line block ×5, first 2 shown]
	ds_store_b32 v0, v33
	ds_store_b32 v1, v24
	;; [unrolled: 1-line block ×5, first 2 shown]
	s_waitcnt lgkmcnt(0)
	s_barrier
.LBB36_35:
	s_waitcnt vmcnt(0)
	buffer_gl0_inv
	ds_load_2addr_b32 v[0:1], v25 offset1:1
	ds_load_2addr_b32 v[2:3], v25 offset0:2 offset1:3
	ds_load_2addr_b32 v[4:5], v25 offset0:4 offset1:5
	;; [unrolled: 1-line block ×3, first 2 shown]
	ds_load_b32 v12, v25 offset:32
	v_xor_b32_e32 v8, 0x80008000, v13
	v_xor_b32_e32 v9, 0x80008000, v14
	;; [unrolled: 1-line block ×5, first 2 shown]
	s_clause 0x1
	global_store_b128 v[19:20], v[8:11], off
	global_store_b16 v[19:20], v13, off offset:16
	s_waitcnt lgkmcnt(3)
	global_store_b128 v[17:18], v[0:3], off
	s_waitcnt lgkmcnt(1)
	global_store_b128 v[17:18], v[4:7], off offset:16
	s_waitcnt lgkmcnt(0)
	global_store_b32 v[17:18], v12, off offset:32
	s_nop 0
	s_sendmsg sendmsg(MSG_DEALLOC_VGPRS)
	s_endpgm
	.section	.rodata,"a",@progbits
	.p2align	6, 0x0
	.amdhsa_kernel _Z21sort_key_value_kernelILj234ELj9ELb0ELb0EsiEvPT3_PT4_jj
		.amdhsa_group_segment_fixed_size 8432
		.amdhsa_private_segment_fixed_size 0
		.amdhsa_kernarg_size 24
		.amdhsa_user_sgpr_count 15
		.amdhsa_user_sgpr_dispatch_ptr 0
		.amdhsa_user_sgpr_queue_ptr 0
		.amdhsa_user_sgpr_kernarg_segment_ptr 1
		.amdhsa_user_sgpr_dispatch_id 0
		.amdhsa_user_sgpr_private_segment_size 0
		.amdhsa_wavefront_size32 1
		.amdhsa_uses_dynamic_stack 0
		.amdhsa_enable_private_segment 0
		.amdhsa_system_sgpr_workgroup_id_x 1
		.amdhsa_system_sgpr_workgroup_id_y 0
		.amdhsa_system_sgpr_workgroup_id_z 0
		.amdhsa_system_sgpr_workgroup_info 0
		.amdhsa_system_vgpr_workitem_id 0
		.amdhsa_next_free_vgpr 76
		.amdhsa_next_free_sgpr 24
		.amdhsa_reserve_vcc 1
		.amdhsa_float_round_mode_32 0
		.amdhsa_float_round_mode_16_64 0
		.amdhsa_float_denorm_mode_32 3
		.amdhsa_float_denorm_mode_16_64 3
		.amdhsa_dx10_clamp 1
		.amdhsa_ieee_mode 1
		.amdhsa_fp16_overflow 0
		.amdhsa_workgroup_processor_mode 1
		.amdhsa_memory_ordered 1
		.amdhsa_forward_progress 0
		.amdhsa_shared_vgpr_count 0
		.amdhsa_exception_fp_ieee_invalid_op 0
		.amdhsa_exception_fp_denorm_src 0
		.amdhsa_exception_fp_ieee_div_zero 0
		.amdhsa_exception_fp_ieee_overflow 0
		.amdhsa_exception_fp_ieee_underflow 0
		.amdhsa_exception_fp_ieee_inexact 0
		.amdhsa_exception_int_div_zero 0
	.end_amdhsa_kernel
	.section	.text._Z21sort_key_value_kernelILj234ELj9ELb0ELb0EsiEvPT3_PT4_jj,"axG",@progbits,_Z21sort_key_value_kernelILj234ELj9ELb0ELb0EsiEvPT3_PT4_jj,comdat
.Lfunc_end36:
	.size	_Z21sort_key_value_kernelILj234ELj9ELb0ELb0EsiEvPT3_PT4_jj, .Lfunc_end36-_Z21sort_key_value_kernelILj234ELj9ELb0ELb0EsiEvPT3_PT4_jj
                                        ; -- End function
	.section	.AMDGPU.csdata,"",@progbits
; Kernel info:
; codeLenInByte = 5356
; NumSgprs: 26
; NumVgprs: 76
; ScratchSize: 0
; MemoryBound: 0
; FloatMode: 240
; IeeeMode: 1
; LDSByteSize: 8432 bytes/workgroup (compile time only)
; SGPRBlocks: 3
; VGPRBlocks: 9
; NumSGPRsForWavesPerEU: 26
; NumVGPRsForWavesPerEU: 76
; Occupancy: 16
; WaveLimiterHint : 0
; COMPUTE_PGM_RSRC2:SCRATCH_EN: 0
; COMPUTE_PGM_RSRC2:USER_SGPR: 15
; COMPUTE_PGM_RSRC2:TRAP_HANDLER: 0
; COMPUTE_PGM_RSRC2:TGID_X_EN: 1
; COMPUTE_PGM_RSRC2:TGID_Y_EN: 0
; COMPUTE_PGM_RSRC2:TGID_Z_EN: 0
; COMPUTE_PGM_RSRC2:TIDIG_COMP_CNT: 0
	.section	.text._Z21sort_key_value_kernelILj100ELj3ELb0ELb0EtiEvPT3_PT4_jj,"axG",@progbits,_Z21sort_key_value_kernelILj100ELj3ELb0ELb0EtiEvPT3_PT4_jj,comdat
	.protected	_Z21sort_key_value_kernelILj100ELj3ELb0ELb0EtiEvPT3_PT4_jj ; -- Begin function _Z21sort_key_value_kernelILj100ELj3ELb0ELb0EtiEvPT3_PT4_jj
	.globl	_Z21sort_key_value_kernelILj100ELj3ELb0ELb0EtiEvPT3_PT4_jj
	.p2align	8
	.type	_Z21sort_key_value_kernelILj100ELj3ELb0ELb0EtiEvPT3_PT4_jj,@function
_Z21sort_key_value_kernelILj100ELj3ELb0ELb0EtiEvPT3_PT4_jj: ; @_Z21sort_key_value_kernelILj100ELj3ELb0ELb0EtiEvPT3_PT4_jj
; %bb.0:
	s_clause 0x1
	s_load_b128 s[4:7], s[0:1], 0x0
	s_load_b64 s[24:25], s[0:1], 0x10
	v_mul_u32_u24_e32 v1, 3, v0
	s_mov_b32 s3, 0
	s_mul_i32 s2, s15, 0x12c
	v_and_b32_e32 v2, 0x60, v0
	s_lshl_b64 s[0:1], s[2:3], 1
	v_lshlrev_b32_e32 v12, 1, v1
	v_lshlrev_b32_e32 v13, 2, v1
	v_mbcnt_lo_u32_b32 v1, -1, 0
	v_min_u32_e32 v2, 0x44, v2
	v_lshlrev_b32_e32 v18, 5, v0
	v_cmp_gt_u32_e64 s11, 0x320, v0
	v_lshlrev_b32_e32 v22, 2, v0
	v_add_nc_u32_e32 v5, -1, v1
	v_and_b32_e32 v3, 15, v1
	v_and_b32_e32 v4, 16, v1
	v_add_nc_u32_e32 v2, 31, v2
	v_mad_i32_i24 v21, 0xffffffe4, v0, v18
	v_cmp_gt_i32_e32 vcc_lo, 0, v5
	s_waitcnt lgkmcnt(0)
	s_add_u32 s20, s4, s0
	s_addc_u32 s21, s5, s1
	s_lshl_b64 s[0:1], s[2:3], 2
	v_cmp_eq_u32_e64 s9, 0, v3
	s_add_u32 s22, s6, s0
	s_addc_u32 s23, s7, s1
	s_clause 0x1
	global_load_b32 v24, v12, s[20:21]
	global_load_u16 v23, v12, s[20:21] offset:4
	global_load_b96 v[9:11], v13, s[22:23]
	s_cmp_eq_u32 s24, 0
	v_cmp_lt_u32_e64 s6, 1, v3
	s_cselect_b32 s0, -1, 0
	s_cmp_eq_u32 s25, 16
	v_cmp_lt_u32_e64 s7, 3, v3
	v_cmp_lt_u32_e64 s10, 7, v3
	v_cmp_eq_u32_e64 s8, 0, v4
	v_cmp_eq_u32_e64 s5, v2, v0
	v_cndmask_b32_e32 v2, v5, v1, vcc_lo
	v_lshrrev_b32_e32 v3, 3, v0
	v_and_b32_e32 v4, 3, v1
	v_lshl_add_u32 v17, v0, 1, v21
	s_cselect_b32 s1, -1, 0
	v_cmp_gt_u32_e64 s2, 4, v0
	s_and_b32 s12, s0, s1
	v_cmp_lt_u32_e64 s1, 31, v0
	v_lshlrev_b32_e32 v19, 2, v2
	v_cmp_eq_u32_e64 s0, 0, v1
	v_and_b32_e32 v20, 12, v3
	v_cmp_eq_u32_e64 s4, 0, v4
	v_cmp_lt_u32_e64 s3, 1, v4
	v_mad_u32_u24 v16, v0, 6, v17
	s_and_b32 vcc_lo, exec_lo, s12
	v_cmp_gt_u32_e64 s12, 0x2bc, v0
	s_mov_b32 s13, -1
	s_cbranch_vccnz .LBB37_21
; %bb.1:
	v_cmp_gt_u32_e64 s13, 0x258, v0
	v_cmp_gt_u32_e64 s14, 0x1f4, v0
	;; [unrolled: 1-line block ×6, first 2 shown]
	s_waitcnt vmcnt(0)
	v_dual_mov_b32 v26, 0 :: v_dual_mov_b32 v1, v9
	v_dual_mov_b32 v2, v10 :: v_dual_mov_b32 v7, v23
	v_mov_b32_e32 v8, v11
	v_mov_b32_e32 v28, v24
	s_sub_i32 s19, s25, s24
	s_branch .LBB37_3
.LBB37_2:                               ;   in Loop: Header=BB37_3 Depth=1
	s_delay_alu instid0(VALU_DEP_3) | instskip(NEXT) | instid1(VALU_DEP_3)
	v_add_nc_u32_e32 v1, v5, v5
	v_add_nc_u32_e32 v2, v4, v4
	s_delay_alu instid0(VALU_DEP_3)
	v_add_nc_u32_e32 v8, v3, v3
	s_barrier
	buffer_gl0_inv
	ds_store_b16 v5, v28
	ds_store_b16 v4, v29
	;; [unrolled: 1-line block ×3, first 2 shown]
	s_waitcnt lgkmcnt(0)
	s_barrier
	buffer_gl0_inv
	ds_load_b32 v28, v17
	ds_load_u16 v7, v17 offset:4
	s_waitcnt lgkmcnt(0)
	s_barrier
	buffer_gl0_inv
	ds_store_b32 v1, v25
	ds_store_b32 v2, v15
	;; [unrolled: 1-line block ×3, first 2 shown]
	s_waitcnt lgkmcnt(0)
	s_barrier
	buffer_gl0_inv
	ds_load_2addr_b32 v[1:2], v16 offset1:1
	ds_load_b32 v8, v16 offset:8
	s_add_i32 s19, s19, -4
	s_waitcnt lgkmcnt(0)
	s_barrier
	buffer_gl0_inv
	s_cbranch_execz .LBB37_20
.LBB37_3:                               ; =>This Inner Loop Header: Depth=1
	s_delay_alu instid0(VALU_DEP_2)
	v_dual_mov_b32 v27, v7 :: v_dual_mov_b32 v14, v8
	v_mov_b32_e32 v15, v2
	v_mov_b32_e32 v25, v1
	s_and_saveexec_b32 s26, s11
	s_cbranch_execz .LBB37_12
; %bb.4:                                ;   in Loop: Header=BB37_3 Depth=1
	ds_store_b32 v22, v26
	s_and_b32 exec_lo, exec_lo, s12
	s_cbranch_execz .LBB37_12
; %bb.5:                                ;   in Loop: Header=BB37_3 Depth=1
	ds_store_b32 v22, v26 offset:400
	s_and_b32 exec_lo, exec_lo, s13
	s_cbranch_execz .LBB37_12
; %bb.6:                                ;   in Loop: Header=BB37_3 Depth=1
	ds_store_b32 v22, v26 offset:800
	s_and_b32 exec_lo, exec_lo, s14
	s_cbranch_execz .LBB37_12
; %bb.7:                                ;   in Loop: Header=BB37_3 Depth=1
	ds_store_b32 v22, v26 offset:1200
	s_and_b32 exec_lo, exec_lo, s15
	s_cbranch_execz .LBB37_12
; %bb.8:                                ;   in Loop: Header=BB37_3 Depth=1
	ds_store_b32 v22, v26 offset:1600
	s_and_b32 exec_lo, exec_lo, s16
	s_cbranch_execz .LBB37_12
; %bb.9:                                ;   in Loop: Header=BB37_3 Depth=1
	ds_store_b32 v22, v26 offset:2000
	s_and_b32 exec_lo, exec_lo, s17
	s_cbranch_execz .LBB37_12
; %bb.10:                               ;   in Loop: Header=BB37_3 Depth=1
	ds_store_b32 v22, v26 offset:2400
	s_and_b32 exec_lo, exec_lo, s18
	s_cbranch_execz .LBB37_12
; %bb.11:                               ;   in Loop: Header=BB37_3 Depth=1
	ds_store_b32 v22, v26 offset:2800
.LBB37_12:                              ;   in Loop: Header=BB37_3 Depth=1
	s_or_b32 exec_lo, exec_lo, s26
	v_and_b32_e32 v1, 0xffff, v28
	s_min_u32 s26, s19, 4
	v_lshrrev_b32_e32 v29, 16, v28
	s_lshl_b32 s26, -1, s26
	v_and_b32_e32 v3, 0xffff, v27
	v_lshrrev_b32_e32 v1, s24, v1
	s_not_b32 s26, s26
	s_delay_alu instid0(VALU_DEP_1) | instid1(SALU_CYCLE_1)
	v_and_b32_e32 v1, s26, v1
	s_delay_alu instid0(VALU_DEP_1) | instskip(SKIP_1) | instid1(VALU_DEP_2)
	v_and_b32_e32 v2, 7, v1
	v_lshrrev_b32_e32 v1, 3, v1
	v_mul_u32_u24_e32 v2, 0x64, v2
	s_delay_alu instid0(VALU_DEP_1) | instskip(NEXT) | instid1(VALU_DEP_1)
	v_add_lshl_u32 v2, v2, v0, 1
	v_add_lshl_u32 v31, v2, v1, 1
	v_lshrrev_b32_e32 v1, s24, v29
	ds_load_u16 v30, v31
	v_and_b32_e32 v1, s26, v1
	s_delay_alu instid0(VALU_DEP_1) | instskip(SKIP_1) | instid1(VALU_DEP_2)
	v_and_b32_e32 v2, 7, v1
	v_lshrrev_b32_e32 v1, 3, v1
	v_mul_u32_u24_e32 v2, 0x64, v2
	s_delay_alu instid0(VALU_DEP_1) | instskip(SKIP_2) | instid1(VALU_DEP_2)
	v_add_lshl_u32 v2, v2, v0, 1
	s_waitcnt lgkmcnt(0)
	v_add_nc_u16 v4, v30, 1
	v_add_lshl_u32 v32, v2, v1, 1
	v_lshrrev_b32_e32 v1, s24, v3
	ds_store_b16 v31, v4
	ds_load_u16 v33, v32
	v_and_b32_e32 v1, s26, v1
	s_delay_alu instid0(VALU_DEP_1) | instskip(SKIP_1) | instid1(VALU_DEP_2)
	v_and_b32_e32 v2, 7, v1
	v_lshrrev_b32_e32 v1, 3, v1
	v_mul_u32_u24_e32 v2, 0x64, v2
	s_delay_alu instid0(VALU_DEP_1) | instskip(SKIP_2) | instid1(VALU_DEP_2)
	v_add_lshl_u32 v2, v2, v0, 1
	s_waitcnt lgkmcnt(0)
	v_add_nc_u16 v3, v33, 1
	v_add_lshl_u32 v35, v2, v1, 1
	ds_store_b16 v32, v3
	ds_load_u16 v34, v35
	s_waitcnt lgkmcnt(0)
	v_add_nc_u16 v1, v34, 1
	ds_store_b16 v35, v1
	s_waitcnt lgkmcnt(0)
	s_barrier
	buffer_gl0_inv
	ds_load_2addr_b64 v[5:8], v18 offset1:1
	ds_load_2addr_b64 v[1:4], v18 offset0:2 offset1:3
	s_waitcnt lgkmcnt(1)
	v_add_nc_u32_e32 v36, v6, v5
	s_delay_alu instid0(VALU_DEP_1) | instskip(SKIP_1) | instid1(VALU_DEP_1)
	v_add3_u32 v36, v36, v7, v8
	s_waitcnt lgkmcnt(0)
	v_add3_u32 v36, v36, v1, v2
	s_delay_alu instid0(VALU_DEP_1) | instskip(NEXT) | instid1(VALU_DEP_1)
	v_add3_u32 v4, v36, v3, v4
	v_mov_b32_dpp v36, v4 row_shr:1 row_mask:0xf bank_mask:0xf
	s_delay_alu instid0(VALU_DEP_1) | instskip(NEXT) | instid1(VALU_DEP_1)
	v_cndmask_b32_e64 v36, v36, 0, s9
	v_add_nc_u32_e32 v4, v36, v4
	s_delay_alu instid0(VALU_DEP_1) | instskip(NEXT) | instid1(VALU_DEP_1)
	v_mov_b32_dpp v36, v4 row_shr:2 row_mask:0xf bank_mask:0xf
	v_cndmask_b32_e64 v36, 0, v36, s6
	s_delay_alu instid0(VALU_DEP_1) | instskip(NEXT) | instid1(VALU_DEP_1)
	v_add_nc_u32_e32 v4, v4, v36
	v_mov_b32_dpp v36, v4 row_shr:4 row_mask:0xf bank_mask:0xf
	s_delay_alu instid0(VALU_DEP_1) | instskip(NEXT) | instid1(VALU_DEP_1)
	v_cndmask_b32_e64 v36, 0, v36, s7
	v_add_nc_u32_e32 v4, v4, v36
	s_delay_alu instid0(VALU_DEP_1) | instskip(NEXT) | instid1(VALU_DEP_1)
	v_mov_b32_dpp v36, v4 row_shr:8 row_mask:0xf bank_mask:0xf
	v_cndmask_b32_e64 v36, 0, v36, s10
	s_delay_alu instid0(VALU_DEP_1) | instskip(SKIP_3) | instid1(VALU_DEP_1)
	v_add_nc_u32_e32 v4, v4, v36
	ds_swizzle_b32 v36, v4 offset:swizzle(BROADCAST,32,15)
	s_waitcnt lgkmcnt(0)
	v_cndmask_b32_e64 v36, v36, 0, s8
	v_add_nc_u32_e32 v4, v4, v36
	s_and_saveexec_b32 s26, s5
	s_cbranch_execz .LBB37_14
; %bb.13:                               ;   in Loop: Header=BB37_3 Depth=1
	ds_store_b32 v20, v4 offset:3200
.LBB37_14:                              ;   in Loop: Header=BB37_3 Depth=1
	s_or_b32 exec_lo, exec_lo, s26
	s_waitcnt lgkmcnt(0)
	s_barrier
	buffer_gl0_inv
	s_and_saveexec_b32 s26, s2
	s_cbranch_execz .LBB37_16
; %bb.15:                               ;   in Loop: Header=BB37_3 Depth=1
	ds_load_b32 v36, v21 offset:3200
	s_waitcnt lgkmcnt(0)
	v_mov_b32_dpp v37, v36 row_shr:1 row_mask:0xf bank_mask:0xf
	s_delay_alu instid0(VALU_DEP_1) | instskip(NEXT) | instid1(VALU_DEP_1)
	v_cndmask_b32_e64 v37, v37, 0, s4
	v_add_nc_u32_e32 v36, v37, v36
	s_delay_alu instid0(VALU_DEP_1) | instskip(NEXT) | instid1(VALU_DEP_1)
	v_mov_b32_dpp v37, v36 row_shr:2 row_mask:0xf bank_mask:0xf
	v_cndmask_b32_e64 v37, 0, v37, s3
	s_delay_alu instid0(VALU_DEP_1)
	v_add_nc_u32_e32 v36, v36, v37
	ds_store_b32 v21, v36 offset:3200
.LBB37_16:                              ;   in Loop: Header=BB37_3 Depth=1
	s_or_b32 exec_lo, exec_lo, s26
	v_mov_b32_e32 v36, 0
	s_waitcnt lgkmcnt(0)
	s_barrier
	buffer_gl0_inv
	s_and_saveexec_b32 s26, s1
	s_cbranch_execz .LBB37_18
; %bb.17:                               ;   in Loop: Header=BB37_3 Depth=1
	ds_load_b32 v36, v20 offset:3196
.LBB37_18:                              ;   in Loop: Header=BB37_3 Depth=1
	s_or_b32 exec_lo, exec_lo, s26
	s_waitcnt lgkmcnt(0)
	v_add_nc_u32_e32 v4, v36, v4
	ds_load_b32 v37, v26 offset:3212
	s_add_i32 s24, s24, 4
	s_delay_alu instid0(SALU_CYCLE_1) | instskip(SKIP_3) | instid1(VALU_DEP_1)
	s_cmp_ge_u32 s24, s25
	ds_bpermute_b32 v4, v19, v4
	s_waitcnt lgkmcnt(0)
	v_cndmask_b32_e64 v4, v4, v36, s0
	v_lshl_add_u32 v4, v37, 16, v4
	s_delay_alu instid0(VALU_DEP_1) | instskip(NEXT) | instid1(VALU_DEP_1)
	v_add_nc_u32_e32 v5, v4, v5
	v_add_nc_u32_e32 v6, v5, v6
	s_delay_alu instid0(VALU_DEP_1) | instskip(NEXT) | instid1(VALU_DEP_1)
	v_add_nc_u32_e32 v7, v6, v7
	v_add_nc_u32_e32 v36, v7, v8
	v_and_b32_e32 v8, 0xffff, v34
	s_delay_alu instid0(VALU_DEP_2) | instskip(NEXT) | instid1(VALU_DEP_1)
	v_add_nc_u32_e32 v37, v36, v1
	v_add_nc_u32_e32 v1, v37, v2
	s_delay_alu instid0(VALU_DEP_1)
	v_add_nc_u32_e32 v2, v1, v3
	ds_store_2addr_b64 v18, v[4:5], v[6:7] offset1:1
	ds_store_2addr_b64 v18, v[36:37], v[1:2] offset0:2 offset1:3
	v_mov_b32_e32 v6, v28
	s_waitcnt lgkmcnt(0)
	s_barrier
	buffer_gl0_inv
	ds_load_u16 v1, v31
	ds_load_u16 v2, v32
	ds_load_u16 v3, v35
	v_and_b32_e32 v4, 0xffff, v30
	v_and_b32_e32 v7, 0xffff, v33
	s_waitcnt lgkmcnt(0)
	s_delay_alu instid0(VALU_DEP_2) | instskip(NEXT) | instid1(VALU_DEP_2)
	v_add_lshl_u32 v5, v1, v4, 1
	v_add_lshl_u32 v4, v2, v7, 1
	;; [unrolled: 1-line block ×3, first 2 shown]
	s_cbranch_scc0 .LBB37_2
; %bb.19:
                                        ; implicit-def: $vgpr7
                                        ; implicit-def: $vgpr28
                                        ; implicit-def: $vgpr8
                                        ; implicit-def: $vgpr2
                                        ; implicit-def: $sgpr19
.LBB37_20:
	s_barrier
	buffer_gl0_inv
	ds_store_b16 v5, v6
	ds_store_b16 v4, v29
	;; [unrolled: 1-line block ×3, first 2 shown]
	s_waitcnt lgkmcnt(0)
	s_barrier
	buffer_gl0_inv
	ds_load_b32 v1, v17
	ds_load_u16 v2, v17 offset:4
	v_add_nc_u32_e32 v5, v5, v5
	v_add_nc_u32_e32 v4, v4, v4
	;; [unrolled: 1-line block ×3, first 2 shown]
	s_mov_b32 s13, 0
	s_waitcnt lgkmcnt(0)
	s_barrier
	buffer_gl0_inv
	ds_store_b32 v5, v25
	ds_store_b32 v4, v15
	;; [unrolled: 1-line block ×3, first 2 shown]
	s_waitcnt lgkmcnt(0)
	s_barrier
	s_branch .LBB37_22
.LBB37_21:
                                        ; implicit-def: $vgpr2
                                        ; implicit-def: $vgpr1
.LBB37_22:
	v_add_co_u32 v14, s12, s20, v12
	s_delay_alu instid0(VALU_DEP_1) | instskip(SKIP_1) | instid1(VALU_DEP_1)
	v_add_co_ci_u32_e64 v15, null, s21, 0, s12
	v_add_co_u32 v12, s12, s22, v13
	v_add_co_ci_u32_e64 v13, null, s23, 0, s12
	s_and_b32 vcc_lo, exec_lo, s13
	s_cbranch_vccz .LBB37_84
; %bb.23:
	s_and_saveexec_b32 s12, s11
	s_cbranch_execz .LBB37_32
; %bb.24:
	v_dual_mov_b32 v2, 0 :: v_dual_lshlrev_b32 v1, 3, v0
	v_cmp_gt_u32_e32 vcc_lo, 0x2bc, v0
	s_delay_alu instid0(VALU_DEP_2)
	v_sub_nc_u32_e32 v3, v16, v1
	ds_store_b32 v3, v2
	s_and_b32 exec_lo, exec_lo, vcc_lo
	s_cbranch_execz .LBB37_32
; %bb.25:
	v_sub_nc_u32_e32 v1, 0, v1
	v_cmp_gt_u32_e32 vcc_lo, 0x258, v0
	s_delay_alu instid0(VALU_DEP_2)
	v_add_nc_u32_e32 v1, v16, v1
	ds_store_b32 v1, v2 offset:400
	s_and_b32 exec_lo, exec_lo, vcc_lo
	s_cbranch_execz .LBB37_32
; %bb.26:
	v_mov_b32_e32 v2, 0
	v_cmp_gt_u32_e32 vcc_lo, 0x1f4, v0
	ds_store_b32 v1, v2 offset:800
	s_and_b32 exec_lo, exec_lo, vcc_lo
	s_cbranch_execz .LBB37_32
; %bb.27:
	v_cmp_gt_u32_e32 vcc_lo, 0x190, v0
	ds_store_b32 v1, v2 offset:1200
	s_and_b32 exec_lo, exec_lo, vcc_lo
	s_cbranch_execz .LBB37_32
; %bb.28:
	v_mov_b32_e32 v2, 0
	v_cmp_gt_u32_e32 vcc_lo, 0x12c, v0
	ds_store_b32 v1, v2 offset:1600
	s_and_b32 exec_lo, exec_lo, vcc_lo
	s_cbranch_execz .LBB37_32
; %bb.29:
	v_cmp_gt_u32_e32 vcc_lo, 0xc8, v0
	ds_store_b32 v1, v2 offset:2000
	s_and_b32 exec_lo, exec_lo, vcc_lo
	s_cbranch_execz .LBB37_32
; %bb.30:
	v_mov_b32_e32 v2, 0
	v_cmp_gt_u32_e32 vcc_lo, 0x64, v0
	ds_store_b32 v1, v2 offset:2400
	s_and_b32 exec_lo, exec_lo, vcc_lo
	s_cbranch_execz .LBB37_32
; %bb.31:
	ds_store_b32 v1, v2 offset:2800
.LBB37_32:
	s_or_b32 exec_lo, exec_lo, s12
	s_waitcnt vmcnt(2)
	v_and_b32_e32 v1, 7, v24
	v_lshrrev_b32_e32 v2, 2, v24
	s_delay_alu instid0(VALU_DEP_2) | instskip(NEXT) | instid1(VALU_DEP_2)
	v_mad_u32_u24 v1, 0x64, v1, v0
	v_and_b32_e32 v2, 2, v2
	s_delay_alu instid0(VALU_DEP_1)
	v_lshl_or_b32 v26, v1, 2, v2
	v_bfe_u32 v1, v24, 16, 3
	v_lshrrev_b32_e32 v2, 18, v24
	ds_load_u16 v25, v26
	v_mad_u32_u24 v1, 0x64, v1, v0
	v_and_b32_e32 v2, 2, v2
	s_delay_alu instid0(VALU_DEP_1) | instskip(SKIP_2) | instid1(VALU_DEP_1)
	v_lshl_or_b32 v28, v1, 2, v2
	s_waitcnt vmcnt(1)
	v_and_b32_e32 v1, 0xffff, v23
	v_and_b32_e32 v2, 7, v1
	v_lshrrev_b32_e32 v1, 2, v1
	s_delay_alu instid0(VALU_DEP_2) | instskip(NEXT) | instid1(VALU_DEP_2)
	v_mad_u32_u24 v2, 0x64, v2, v0
	v_and_b32_e32 v1, 2, v1
	s_waitcnt lgkmcnt(0)
	v_add_nc_u16 v3, v25, 1
	s_delay_alu instid0(VALU_DEP_2)
	v_lshl_or_b32 v30, v2, 2, v1
	ds_store_b16 v26, v3
	ds_load_u16 v27, v28
	s_waitcnt lgkmcnt(0)
	v_add_nc_u16 v3, v27, 1
	ds_store_b16 v28, v3
	ds_load_u16 v29, v30
	s_waitcnt lgkmcnt(0)
	v_add_nc_u16 v1, v29, 1
	ds_store_b16 v30, v1
	s_waitcnt vmcnt(0) lgkmcnt(0)
	s_barrier
	buffer_gl0_inv
	ds_load_2addr_b64 v[5:8], v18 offset1:1
	ds_load_2addr_b64 v[1:4], v18 offset0:2 offset1:3
	s_waitcnt lgkmcnt(1)
	v_add_nc_u32_e32 v31, v6, v5
	s_delay_alu instid0(VALU_DEP_1) | instskip(SKIP_1) | instid1(VALU_DEP_1)
	v_add3_u32 v31, v31, v7, v8
	s_waitcnt lgkmcnt(0)
	v_add3_u32 v31, v31, v1, v2
	s_delay_alu instid0(VALU_DEP_1) | instskip(NEXT) | instid1(VALU_DEP_1)
	v_add3_u32 v4, v31, v3, v4
	v_mov_b32_dpp v31, v4 row_shr:1 row_mask:0xf bank_mask:0xf
	s_delay_alu instid0(VALU_DEP_1) | instskip(NEXT) | instid1(VALU_DEP_1)
	v_cndmask_b32_e64 v31, v31, 0, s9
	v_add_nc_u32_e32 v4, v31, v4
	s_delay_alu instid0(VALU_DEP_1) | instskip(NEXT) | instid1(VALU_DEP_1)
	v_mov_b32_dpp v31, v4 row_shr:2 row_mask:0xf bank_mask:0xf
	v_cndmask_b32_e64 v31, 0, v31, s6
	s_delay_alu instid0(VALU_DEP_1) | instskip(NEXT) | instid1(VALU_DEP_1)
	v_add_nc_u32_e32 v4, v4, v31
	v_mov_b32_dpp v31, v4 row_shr:4 row_mask:0xf bank_mask:0xf
	s_delay_alu instid0(VALU_DEP_1) | instskip(NEXT) | instid1(VALU_DEP_1)
	v_cndmask_b32_e64 v31, 0, v31, s7
	v_add_nc_u32_e32 v4, v4, v31
	s_delay_alu instid0(VALU_DEP_1) | instskip(NEXT) | instid1(VALU_DEP_1)
	v_mov_b32_dpp v31, v4 row_shr:8 row_mask:0xf bank_mask:0xf
	v_cndmask_b32_e64 v31, 0, v31, s10
	s_delay_alu instid0(VALU_DEP_1) | instskip(SKIP_3) | instid1(VALU_DEP_1)
	v_add_nc_u32_e32 v4, v4, v31
	ds_swizzle_b32 v31, v4 offset:swizzle(BROADCAST,32,15)
	s_waitcnt lgkmcnt(0)
	v_cndmask_b32_e64 v31, v31, 0, s8
	v_add_nc_u32_e32 v31, v4, v31
	s_and_saveexec_b32 s12, s5
	s_cbranch_execz .LBB37_34
; %bb.33:
	ds_store_b32 v20, v31 offset:3200
.LBB37_34:
	s_or_b32 exec_lo, exec_lo, s12
	s_waitcnt lgkmcnt(0)
	s_barrier
	buffer_gl0_inv
	s_and_saveexec_b32 s12, s2
	s_cbranch_execz .LBB37_36
; %bb.35:
	ds_load_b32 v4, v21 offset:3200
	s_waitcnt lgkmcnt(0)
	v_mov_b32_dpp v32, v4 row_shr:1 row_mask:0xf bank_mask:0xf
	s_delay_alu instid0(VALU_DEP_1) | instskip(NEXT) | instid1(VALU_DEP_1)
	v_cndmask_b32_e64 v32, v32, 0, s4
	v_add_nc_u32_e32 v4, v32, v4
	s_delay_alu instid0(VALU_DEP_1) | instskip(NEXT) | instid1(VALU_DEP_1)
	v_mov_b32_dpp v32, v4 row_shr:2 row_mask:0xf bank_mask:0xf
	v_cndmask_b32_e64 v32, 0, v32, s3
	s_delay_alu instid0(VALU_DEP_1)
	v_add_nc_u32_e32 v4, v4, v32
	ds_store_b32 v21, v4 offset:3200
.LBB37_36:
	s_or_b32 exec_lo, exec_lo, s12
	v_lshrrev_b32_e32 v4, 16, v24
	v_dual_mov_b32 v32, 0 :: v_dual_mov_b32 v33, 0
	s_waitcnt lgkmcnt(0)
	s_barrier
	buffer_gl0_inv
	s_and_saveexec_b32 s12, s1
	s_cbranch_execz .LBB37_38
; %bb.37:
	ds_load_b32 v33, v20 offset:3196
.LBB37_38:
	s_or_b32 exec_lo, exec_lo, s12
	s_waitcnt lgkmcnt(0)
	v_add_nc_u32_e32 v31, v33, v31
	ds_load_b32 v32, v32 offset:3212
	ds_bpermute_b32 v31, v19, v31
	s_waitcnt lgkmcnt(0)
	v_cndmask_b32_e64 v31, v31, v33, s0
	s_delay_alu instid0(VALU_DEP_1) | instskip(NEXT) | instid1(VALU_DEP_1)
	v_lshl_add_u32 v31, v32, 16, v31
	v_add_nc_u32_e32 v32, v31, v5
	s_delay_alu instid0(VALU_DEP_1) | instskip(NEXT) | instid1(VALU_DEP_1)
	v_add_nc_u32_e32 v5, v32, v6
	v_add_nc_u32_e32 v6, v5, v7
	s_delay_alu instid0(VALU_DEP_1) | instskip(NEXT) | instid1(VALU_DEP_1)
	v_add_nc_u32_e32 v7, v6, v8
	;; [unrolled: 3-line block ×3, first 2 shown]
	v_add_nc_u32_e32 v2, v1, v3
	ds_store_2addr_b64 v18, v[31:32], v[5:6] offset1:1
	ds_store_2addr_b64 v18, v[7:8], v[1:2] offset0:2 offset1:3
	s_waitcnt lgkmcnt(0)
	s_barrier
	buffer_gl0_inv
	ds_load_u16 v1, v26
	ds_load_u16 v2, v28
	;; [unrolled: 1-line block ×3, first 2 shown]
	v_and_b32_e32 v5, 0xffff, v25
	v_and_b32_e32 v6, 0xffff, v27
	;; [unrolled: 1-line block ×3, first 2 shown]
	s_waitcnt lgkmcnt(0)
	s_barrier
	buffer_gl0_inv
	v_add_lshl_u32 v1, v1, v5, 1
	v_add_lshl_u32 v2, v2, v6, 1
	;; [unrolled: 1-line block ×3, first 2 shown]
	ds_store_b16 v1, v24
	ds_store_b16 v2, v4
	;; [unrolled: 1-line block ×3, first 2 shown]
	v_add_nc_u32_e32 v1, v1, v1
	v_add_nc_u32_e32 v2, v2, v2
	;; [unrolled: 1-line block ×3, first 2 shown]
	s_waitcnt lgkmcnt(0)
	s_barrier
	buffer_gl0_inv
	ds_load_u16 v23, v17
	ds_load_u16 v24, v17 offset:2
	ds_load_u16 v25, v17 offset:4
	s_waitcnt lgkmcnt(0)
	s_barrier
	buffer_gl0_inv
	ds_store_b32 v1, v9
	ds_store_b32 v2, v10
	;; [unrolled: 1-line block ×3, first 2 shown]
	s_waitcnt lgkmcnt(0)
	s_barrier
	buffer_gl0_inv
	ds_load_2addr_b32 v[9:10], v16 offset1:1
	ds_load_b32 v11, v16 offset:8
	s_waitcnt lgkmcnt(0)
	s_barrier
	buffer_gl0_inv
	s_and_saveexec_b32 s12, s11
	s_cbranch_execz .LBB37_47
; %bb.39:
	v_mov_b32_e32 v1, 0
	v_cmp_gt_u32_e32 vcc_lo, 0x2bc, v0
	ds_store_b32 v22, v1
	s_and_b32 exec_lo, exec_lo, vcc_lo
	s_cbranch_execz .LBB37_47
; %bb.40:
	v_cmp_gt_u32_e32 vcc_lo, 0x258, v0
	ds_store_b32 v22, v1 offset:400
	s_and_b32 exec_lo, exec_lo, vcc_lo
	s_cbranch_execz .LBB37_47
; %bb.41:
	v_mov_b32_e32 v1, 0
	v_cmp_gt_u32_e32 vcc_lo, 0x1f4, v0
	ds_store_b32 v22, v1 offset:800
	s_and_b32 exec_lo, exec_lo, vcc_lo
	s_cbranch_execz .LBB37_47
; %bb.42:
	v_cmp_gt_u32_e32 vcc_lo, 0x190, v0
	ds_store_b32 v22, v1 offset:1200
	s_and_b32 exec_lo, exec_lo, vcc_lo
	s_cbranch_execz .LBB37_47
; %bb.43:
	v_mov_b32_e32 v1, 0
	v_cmp_gt_u32_e32 vcc_lo, 0x12c, v0
	ds_store_b32 v22, v1 offset:1600
	;; [unrolled: 11-line block ×3, first 2 shown]
	s_and_b32 exec_lo, exec_lo, vcc_lo
	s_cbranch_execz .LBB37_47
; %bb.46:
	ds_store_b32 v22, v1 offset:2800
.LBB37_47:
	s_or_b32 exec_lo, exec_lo, s12
	v_lshrrev_b16 v1, 4, v23
	s_delay_alu instid0(VALU_DEP_1) | instskip(NEXT) | instid1(VALU_DEP_1)
	v_and_b32_e32 v1, 0xffff, v1
	v_and_b32_e32 v2, 7, v1
	v_lshrrev_b32_e32 v1, 2, v1
	s_delay_alu instid0(VALU_DEP_2) | instskip(NEXT) | instid1(VALU_DEP_2)
	v_mad_u32_u24 v2, 0x64, v2, v0
	v_and_b32_e32 v1, 2, v1
	s_delay_alu instid0(VALU_DEP_1) | instskip(SKIP_3) | instid1(VALU_DEP_1)
	v_lshl_or_b32 v26, v2, 2, v1
	v_lshrrev_b16 v1, 4, v24
	ds_load_u16 v27, v26
	v_and_b32_e32 v1, 0xffff, v1
	v_and_b32_e32 v2, 7, v1
	v_lshrrev_b32_e32 v1, 2, v1
	s_delay_alu instid0(VALU_DEP_2) | instskip(NEXT) | instid1(VALU_DEP_2)
	v_mad_u32_u24 v2, 0x64, v2, v0
	v_and_b32_e32 v1, 2, v1
	s_delay_alu instid0(VALU_DEP_1) | instskip(SKIP_3) | instid1(VALU_DEP_2)
	v_lshl_or_b32 v28, v2, 2, v1
	v_lshrrev_b16 v1, 4, v25
	s_waitcnt lgkmcnt(0)
	v_add_nc_u16 v3, v27, 1
	v_and_b32_e32 v1, 0xffff, v1
	ds_store_b16 v26, v3
	ds_load_u16 v29, v28
	v_and_b32_e32 v2, 7, v1
	v_lshrrev_b32_e32 v1, 2, v1
	s_delay_alu instid0(VALU_DEP_2) | instskip(NEXT) | instid1(VALU_DEP_2)
	v_mad_u32_u24 v2, 0x64, v2, v0
	v_and_b32_e32 v1, 2, v1
	s_delay_alu instid0(VALU_DEP_1)
	v_lshl_or_b32 v31, v2, 2, v1
	s_waitcnt lgkmcnt(0)
	v_add_nc_u16 v3, v29, 1
	ds_store_b16 v28, v3
	ds_load_u16 v30, v31
	s_waitcnt lgkmcnt(0)
	v_add_nc_u16 v1, v30, 1
	ds_store_b16 v31, v1
	s_waitcnt lgkmcnt(0)
	s_barrier
	buffer_gl0_inv
	ds_load_2addr_b64 v[5:8], v18 offset1:1
	ds_load_2addr_b64 v[1:4], v18 offset0:2 offset1:3
	s_waitcnt lgkmcnt(1)
	v_add_nc_u32_e32 v32, v6, v5
	s_delay_alu instid0(VALU_DEP_1) | instskip(SKIP_1) | instid1(VALU_DEP_1)
	v_add3_u32 v32, v32, v7, v8
	s_waitcnt lgkmcnt(0)
	v_add3_u32 v32, v32, v1, v2
	s_delay_alu instid0(VALU_DEP_1) | instskip(NEXT) | instid1(VALU_DEP_1)
	v_add3_u32 v4, v32, v3, v4
	v_mov_b32_dpp v32, v4 row_shr:1 row_mask:0xf bank_mask:0xf
	s_delay_alu instid0(VALU_DEP_1) | instskip(NEXT) | instid1(VALU_DEP_1)
	v_cndmask_b32_e64 v32, v32, 0, s9
	v_add_nc_u32_e32 v4, v32, v4
	s_delay_alu instid0(VALU_DEP_1) | instskip(NEXT) | instid1(VALU_DEP_1)
	v_mov_b32_dpp v32, v4 row_shr:2 row_mask:0xf bank_mask:0xf
	v_cndmask_b32_e64 v32, 0, v32, s6
	s_delay_alu instid0(VALU_DEP_1) | instskip(NEXT) | instid1(VALU_DEP_1)
	v_add_nc_u32_e32 v4, v4, v32
	v_mov_b32_dpp v32, v4 row_shr:4 row_mask:0xf bank_mask:0xf
	s_delay_alu instid0(VALU_DEP_1) | instskip(NEXT) | instid1(VALU_DEP_1)
	v_cndmask_b32_e64 v32, 0, v32, s7
	v_add_nc_u32_e32 v4, v4, v32
	s_delay_alu instid0(VALU_DEP_1) | instskip(NEXT) | instid1(VALU_DEP_1)
	v_mov_b32_dpp v32, v4 row_shr:8 row_mask:0xf bank_mask:0xf
	v_cndmask_b32_e64 v32, 0, v32, s10
	s_delay_alu instid0(VALU_DEP_1) | instskip(SKIP_3) | instid1(VALU_DEP_1)
	v_add_nc_u32_e32 v4, v4, v32
	ds_swizzle_b32 v32, v4 offset:swizzle(BROADCAST,32,15)
	s_waitcnt lgkmcnt(0)
	v_cndmask_b32_e64 v32, v32, 0, s8
	v_add_nc_u32_e32 v4, v4, v32
	s_and_saveexec_b32 s12, s5
	s_cbranch_execz .LBB37_49
; %bb.48:
	ds_store_b32 v20, v4 offset:3200
.LBB37_49:
	s_or_b32 exec_lo, exec_lo, s12
	s_waitcnt lgkmcnt(0)
	s_barrier
	buffer_gl0_inv
	s_and_saveexec_b32 s12, s2
	s_cbranch_execz .LBB37_51
; %bb.50:
	ds_load_b32 v32, v21 offset:3200
	s_waitcnt lgkmcnt(0)
	v_mov_b32_dpp v33, v32 row_shr:1 row_mask:0xf bank_mask:0xf
	s_delay_alu instid0(VALU_DEP_1) | instskip(NEXT) | instid1(VALU_DEP_1)
	v_cndmask_b32_e64 v33, v33, 0, s4
	v_add_nc_u32_e32 v32, v33, v32
	s_delay_alu instid0(VALU_DEP_1) | instskip(NEXT) | instid1(VALU_DEP_1)
	v_mov_b32_dpp v33, v32 row_shr:2 row_mask:0xf bank_mask:0xf
	v_cndmask_b32_e64 v33, 0, v33, s3
	s_delay_alu instid0(VALU_DEP_1)
	v_add_nc_u32_e32 v32, v32, v33
	ds_store_b32 v21, v32 offset:3200
.LBB37_51:
	s_or_b32 exec_lo, exec_lo, s12
	v_dual_mov_b32 v32, 0 :: v_dual_mov_b32 v33, 0
	s_waitcnt lgkmcnt(0)
	s_barrier
	buffer_gl0_inv
	s_and_saveexec_b32 s12, s1
	s_cbranch_execz .LBB37_53
; %bb.52:
	ds_load_b32 v33, v20 offset:3196
.LBB37_53:
	s_or_b32 exec_lo, exec_lo, s12
	s_waitcnt lgkmcnt(0)
	v_add_nc_u32_e32 v4, v33, v4
	ds_load_b32 v32, v32 offset:3212
	ds_bpermute_b32 v4, v19, v4
	s_waitcnt lgkmcnt(0)
	v_cndmask_b32_e64 v4, v4, v33, s0
	s_delay_alu instid0(VALU_DEP_1) | instskip(NEXT) | instid1(VALU_DEP_1)
	v_lshl_add_u32 v4, v32, 16, v4
	v_add_nc_u32_e32 v5, v4, v5
	s_delay_alu instid0(VALU_DEP_1) | instskip(NEXT) | instid1(VALU_DEP_1)
	v_add_nc_u32_e32 v6, v5, v6
	v_add_nc_u32_e32 v7, v6, v7
	s_delay_alu instid0(VALU_DEP_1) | instskip(NEXT) | instid1(VALU_DEP_1)
	v_add_nc_u32_e32 v32, v7, v8
	;; [unrolled: 3-line block ×3, first 2 shown]
	v_add_nc_u32_e32 v2, v1, v3
	ds_store_2addr_b64 v18, v[4:5], v[6:7] offset1:1
	ds_store_2addr_b64 v18, v[32:33], v[1:2] offset0:2 offset1:3
	s_waitcnt lgkmcnt(0)
	s_barrier
	buffer_gl0_inv
	ds_load_u16 v1, v26
	ds_load_u16 v2, v28
	;; [unrolled: 1-line block ×3, first 2 shown]
	v_and_b32_e32 v4, 0xffff, v27
	v_and_b32_e32 v5, 0xffff, v29
	;; [unrolled: 1-line block ×3, first 2 shown]
	s_waitcnt lgkmcnt(0)
	s_barrier
	buffer_gl0_inv
	v_add_lshl_u32 v1, v1, v4, 1
	v_add_lshl_u32 v2, v2, v5, 1
	;; [unrolled: 1-line block ×3, first 2 shown]
	ds_store_b16 v1, v23
	ds_store_b16 v2, v24
	;; [unrolled: 1-line block ×3, first 2 shown]
	v_add_nc_u32_e32 v1, v1, v1
	v_add_nc_u32_e32 v2, v2, v2
	;; [unrolled: 1-line block ×3, first 2 shown]
	s_waitcnt lgkmcnt(0)
	s_barrier
	buffer_gl0_inv
	ds_load_u16 v23, v17
	ds_load_u16 v24, v17 offset:2
	ds_load_u16 v26, v17 offset:4
	s_waitcnt lgkmcnt(0)
	s_barrier
	buffer_gl0_inv
	ds_store_b32 v1, v9
	ds_store_b32 v2, v10
	ds_store_b32 v3, v11
	s_waitcnt lgkmcnt(0)
	s_barrier
	buffer_gl0_inv
	ds_load_2addr_b32 v[9:10], v16 offset1:1
	ds_load_b32 v25, v16 offset:8
	s_waitcnt lgkmcnt(0)
	s_barrier
	buffer_gl0_inv
	s_and_saveexec_b32 s12, s11
	s_cbranch_execz .LBB37_62
; %bb.54:
	v_mov_b32_e32 v1, 0
	v_cmp_gt_u32_e32 vcc_lo, 0x2bc, v0
	ds_store_b32 v22, v1
	s_and_b32 exec_lo, exec_lo, vcc_lo
	s_cbranch_execz .LBB37_62
; %bb.55:
	v_cmp_gt_u32_e32 vcc_lo, 0x258, v0
	ds_store_b32 v22, v1 offset:400
	s_and_b32 exec_lo, exec_lo, vcc_lo
	s_cbranch_execz .LBB37_62
; %bb.56:
	v_mov_b32_e32 v1, 0
	v_cmp_gt_u32_e32 vcc_lo, 0x1f4, v0
	ds_store_b32 v22, v1 offset:800
	s_and_b32 exec_lo, exec_lo, vcc_lo
	s_cbranch_execz .LBB37_62
; %bb.57:
	v_cmp_gt_u32_e32 vcc_lo, 0x190, v0
	ds_store_b32 v22, v1 offset:1200
	s_and_b32 exec_lo, exec_lo, vcc_lo
	s_cbranch_execz .LBB37_62
; %bb.58:
	v_mov_b32_e32 v1, 0
	v_cmp_gt_u32_e32 vcc_lo, 0x12c, v0
	ds_store_b32 v22, v1 offset:1600
	;; [unrolled: 11-line block ×3, first 2 shown]
	s_and_b32 exec_lo, exec_lo, vcc_lo
	s_cbranch_execz .LBB37_62
; %bb.61:
	ds_store_b32 v22, v1 offset:2800
.LBB37_62:
	s_or_b32 exec_lo, exec_lo, s12
	v_lshrrev_b16 v1, 8, v23
	s_delay_alu instid0(VALU_DEP_1) | instskip(NEXT) | instid1(VALU_DEP_1)
	v_and_b32_e32 v1, 0xffff, v1
	v_and_b32_e32 v2, 7, v1
	v_lshrrev_b32_e32 v1, 2, v1
	s_delay_alu instid0(VALU_DEP_2) | instskip(NEXT) | instid1(VALU_DEP_2)
	v_mad_u32_u24 v2, 0x64, v2, v0
	v_and_b32_e32 v1, 2, v1
	s_delay_alu instid0(VALU_DEP_1) | instskip(SKIP_3) | instid1(VALU_DEP_1)
	v_lshl_or_b32 v11, v2, 2, v1
	v_lshrrev_b16 v1, 8, v24
	ds_load_u16 v27, v11
	v_and_b32_e32 v1, 0xffff, v1
	v_and_b32_e32 v2, 7, v1
	v_lshrrev_b32_e32 v1, 2, v1
	s_delay_alu instid0(VALU_DEP_2) | instskip(NEXT) | instid1(VALU_DEP_2)
	v_mad_u32_u24 v2, 0x64, v2, v0
	v_and_b32_e32 v1, 2, v1
	s_delay_alu instid0(VALU_DEP_1) | instskip(SKIP_3) | instid1(VALU_DEP_2)
	v_lshl_or_b32 v28, v2, 2, v1
	v_lshrrev_b16 v1, 8, v26
	s_waitcnt lgkmcnt(0)
	v_add_nc_u16 v3, v27, 1
	v_and_b32_e32 v1, 0xffff, v1
	ds_store_b16 v11, v3
	ds_load_u16 v29, v28
	v_and_b32_e32 v2, 7, v1
	v_lshrrev_b32_e32 v1, 2, v1
	s_delay_alu instid0(VALU_DEP_2) | instskip(NEXT) | instid1(VALU_DEP_2)
	v_mad_u32_u24 v2, 0x64, v2, v0
	v_and_b32_e32 v1, 2, v1
	s_delay_alu instid0(VALU_DEP_1)
	v_lshl_or_b32 v31, v2, 2, v1
	s_waitcnt lgkmcnt(0)
	v_add_nc_u16 v3, v29, 1
	ds_store_b16 v28, v3
	ds_load_u16 v30, v31
	s_waitcnt lgkmcnt(0)
	v_add_nc_u16 v1, v30, 1
	ds_store_b16 v31, v1
	s_waitcnt lgkmcnt(0)
	s_barrier
	buffer_gl0_inv
	ds_load_2addr_b64 v[5:8], v18 offset1:1
	ds_load_2addr_b64 v[1:4], v18 offset0:2 offset1:3
	s_waitcnt lgkmcnt(1)
	v_add_nc_u32_e32 v32, v6, v5
	s_delay_alu instid0(VALU_DEP_1) | instskip(SKIP_1) | instid1(VALU_DEP_1)
	v_add3_u32 v32, v32, v7, v8
	s_waitcnt lgkmcnt(0)
	v_add3_u32 v32, v32, v1, v2
	s_delay_alu instid0(VALU_DEP_1) | instskip(NEXT) | instid1(VALU_DEP_1)
	v_add3_u32 v4, v32, v3, v4
	v_mov_b32_dpp v32, v4 row_shr:1 row_mask:0xf bank_mask:0xf
	s_delay_alu instid0(VALU_DEP_1) | instskip(NEXT) | instid1(VALU_DEP_1)
	v_cndmask_b32_e64 v32, v32, 0, s9
	v_add_nc_u32_e32 v4, v32, v4
	s_delay_alu instid0(VALU_DEP_1) | instskip(NEXT) | instid1(VALU_DEP_1)
	v_mov_b32_dpp v32, v4 row_shr:2 row_mask:0xf bank_mask:0xf
	v_cndmask_b32_e64 v32, 0, v32, s6
	s_delay_alu instid0(VALU_DEP_1) | instskip(NEXT) | instid1(VALU_DEP_1)
	v_add_nc_u32_e32 v4, v4, v32
	v_mov_b32_dpp v32, v4 row_shr:4 row_mask:0xf bank_mask:0xf
	s_delay_alu instid0(VALU_DEP_1) | instskip(NEXT) | instid1(VALU_DEP_1)
	v_cndmask_b32_e64 v32, 0, v32, s7
	v_add_nc_u32_e32 v4, v4, v32
	s_delay_alu instid0(VALU_DEP_1) | instskip(NEXT) | instid1(VALU_DEP_1)
	v_mov_b32_dpp v32, v4 row_shr:8 row_mask:0xf bank_mask:0xf
	v_cndmask_b32_e64 v32, 0, v32, s10
	s_delay_alu instid0(VALU_DEP_1) | instskip(SKIP_3) | instid1(VALU_DEP_1)
	v_add_nc_u32_e32 v4, v4, v32
	ds_swizzle_b32 v32, v4 offset:swizzle(BROADCAST,32,15)
	s_waitcnt lgkmcnt(0)
	v_cndmask_b32_e64 v32, v32, 0, s8
	v_add_nc_u32_e32 v4, v4, v32
	s_and_saveexec_b32 s12, s5
	s_cbranch_execz .LBB37_64
; %bb.63:
	ds_store_b32 v20, v4 offset:3200
.LBB37_64:
	s_or_b32 exec_lo, exec_lo, s12
	s_waitcnt lgkmcnt(0)
	s_barrier
	buffer_gl0_inv
	s_and_saveexec_b32 s12, s2
	s_cbranch_execz .LBB37_66
; %bb.65:
	ds_load_b32 v32, v21 offset:3200
	s_waitcnt lgkmcnt(0)
	v_mov_b32_dpp v33, v32 row_shr:1 row_mask:0xf bank_mask:0xf
	s_delay_alu instid0(VALU_DEP_1) | instskip(NEXT) | instid1(VALU_DEP_1)
	v_cndmask_b32_e64 v33, v33, 0, s4
	v_add_nc_u32_e32 v32, v33, v32
	s_delay_alu instid0(VALU_DEP_1) | instskip(NEXT) | instid1(VALU_DEP_1)
	v_mov_b32_dpp v33, v32 row_shr:2 row_mask:0xf bank_mask:0xf
	v_cndmask_b32_e64 v33, 0, v33, s3
	s_delay_alu instid0(VALU_DEP_1)
	v_add_nc_u32_e32 v32, v32, v33
	ds_store_b32 v21, v32 offset:3200
.LBB37_66:
	s_or_b32 exec_lo, exec_lo, s12
	v_dual_mov_b32 v32, 0 :: v_dual_mov_b32 v33, 0
	s_waitcnt lgkmcnt(0)
	s_barrier
	buffer_gl0_inv
	s_and_saveexec_b32 s12, s1
	s_cbranch_execz .LBB37_68
; %bb.67:
	ds_load_b32 v33, v20 offset:3196
.LBB37_68:
	s_or_b32 exec_lo, exec_lo, s12
	s_waitcnt lgkmcnt(0)
	v_add_nc_u32_e32 v4, v33, v4
	ds_load_b32 v32, v32 offset:3212
	ds_bpermute_b32 v4, v19, v4
	s_waitcnt lgkmcnt(0)
	v_cndmask_b32_e64 v4, v4, v33, s0
	s_delay_alu instid0(VALU_DEP_1) | instskip(NEXT) | instid1(VALU_DEP_1)
	v_lshl_add_u32 v4, v32, 16, v4
	v_add_nc_u32_e32 v5, v4, v5
	s_delay_alu instid0(VALU_DEP_1) | instskip(NEXT) | instid1(VALU_DEP_1)
	v_add_nc_u32_e32 v6, v5, v6
	v_add_nc_u32_e32 v7, v6, v7
	s_delay_alu instid0(VALU_DEP_1) | instskip(NEXT) | instid1(VALU_DEP_1)
	v_add_nc_u32_e32 v32, v7, v8
	v_add_nc_u32_e32 v33, v32, v1
	s_delay_alu instid0(VALU_DEP_1) | instskip(NEXT) | instid1(VALU_DEP_1)
	v_add_nc_u32_e32 v1, v33, v2
	v_add_nc_u32_e32 v2, v1, v3
	ds_store_2addr_b64 v18, v[4:5], v[6:7] offset1:1
	ds_store_2addr_b64 v18, v[32:33], v[1:2] offset0:2 offset1:3
	s_waitcnt lgkmcnt(0)
	s_barrier
	buffer_gl0_inv
	ds_load_u16 v1, v11
	ds_load_u16 v2, v28
	;; [unrolled: 1-line block ×3, first 2 shown]
	v_and_b32_e32 v4, 0xffff, v27
	v_and_b32_e32 v5, 0xffff, v29
	;; [unrolled: 1-line block ×3, first 2 shown]
	s_waitcnt lgkmcnt(0)
	s_barrier
	buffer_gl0_inv
	v_add_lshl_u32 v1, v1, v4, 1
	v_add_lshl_u32 v2, v2, v5, 1
	;; [unrolled: 1-line block ×3, first 2 shown]
	ds_store_b16 v1, v23
	ds_store_b16 v2, v24
	;; [unrolled: 1-line block ×3, first 2 shown]
	v_add_nc_u32_e32 v1, v1, v1
	v_add_nc_u32_e32 v2, v2, v2
	;; [unrolled: 1-line block ×3, first 2 shown]
	s_waitcnt lgkmcnt(0)
	s_barrier
	buffer_gl0_inv
	ds_load_u16 v11, v17
	ds_load_u16 v23, v17 offset:2
	ds_load_u16 v24, v17 offset:4
	s_waitcnt lgkmcnt(0)
	s_barrier
	buffer_gl0_inv
	ds_store_b32 v1, v9
	ds_store_b32 v2, v10
	ds_store_b32 v3, v25
	s_waitcnt lgkmcnt(0)
	s_barrier
	buffer_gl0_inv
	ds_load_2addr_b32 v[8:9], v16 offset1:1
	ds_load_b32 v10, v16 offset:8
	s_waitcnt lgkmcnt(0)
	s_barrier
	buffer_gl0_inv
	s_and_saveexec_b32 s12, s11
	s_cbranch_execz .LBB37_77
; %bb.69:
	v_mov_b32_e32 v1, 0
	v_cmp_gt_u32_e32 vcc_lo, 0x2bc, v0
	ds_store_b32 v22, v1
	s_and_b32 exec_lo, exec_lo, vcc_lo
	s_cbranch_execz .LBB37_77
; %bb.70:
	v_cmp_gt_u32_e32 vcc_lo, 0x258, v0
	ds_store_b32 v22, v1 offset:400
	s_and_b32 exec_lo, exec_lo, vcc_lo
	s_cbranch_execz .LBB37_77
; %bb.71:
	v_mov_b32_e32 v1, 0
	v_cmp_gt_u32_e32 vcc_lo, 0x1f4, v0
	ds_store_b32 v22, v1 offset:800
	s_and_b32 exec_lo, exec_lo, vcc_lo
	s_cbranch_execz .LBB37_77
; %bb.72:
	v_cmp_gt_u32_e32 vcc_lo, 0x190, v0
	ds_store_b32 v22, v1 offset:1200
	s_and_b32 exec_lo, exec_lo, vcc_lo
	s_cbranch_execz .LBB37_77
; %bb.73:
	v_mov_b32_e32 v1, 0
	v_cmp_gt_u32_e32 vcc_lo, 0x12c, v0
	ds_store_b32 v22, v1 offset:1600
	;; [unrolled: 11-line block ×3, first 2 shown]
	s_and_b32 exec_lo, exec_lo, vcc_lo
	s_cbranch_execz .LBB37_77
; %bb.76:
	ds_store_b32 v22, v1 offset:2800
.LBB37_77:
	s_or_b32 exec_lo, exec_lo, s12
	v_lshrrev_b16 v1, 12, v11
	s_delay_alu instid0(VALU_DEP_1) | instskip(NEXT) | instid1(VALU_DEP_1)
	v_and_b32_e32 v1, 0xffff, v1
	v_and_b32_e32 v2, 7, v1
	v_lshrrev_b32_e32 v1, 2, v1
	s_delay_alu instid0(VALU_DEP_2) | instskip(NEXT) | instid1(VALU_DEP_2)
	v_mad_u32_u24 v2, 0x64, v2, v0
	v_and_b32_e32 v1, 2, v1
	s_delay_alu instid0(VALU_DEP_1) | instskip(SKIP_3) | instid1(VALU_DEP_1)
	v_lshl_or_b32 v22, v2, 2, v1
	v_lshrrev_b16 v1, 12, v23
	ds_load_u16 v25, v22
	v_and_b32_e32 v1, 0xffff, v1
	v_and_b32_e32 v2, 7, v1
	v_lshrrev_b32_e32 v1, 2, v1
	s_delay_alu instid0(VALU_DEP_2) | instskip(NEXT) | instid1(VALU_DEP_2)
	v_mad_u32_u24 v2, 0x64, v2, v0
	v_and_b32_e32 v1, 2, v1
	s_delay_alu instid0(VALU_DEP_1) | instskip(SKIP_3) | instid1(VALU_DEP_2)
	v_lshl_or_b32 v26, v2, 2, v1
	v_lshrrev_b16 v1, 12, v24
	s_waitcnt lgkmcnt(0)
	v_add_nc_u16 v3, v25, 1
	v_and_b32_e32 v1, 0xffff, v1
	ds_store_b16 v22, v3
	ds_load_u16 v27, v26
	v_and_b32_e32 v2, 7, v1
	v_lshrrev_b32_e32 v1, 2, v1
	s_delay_alu instid0(VALU_DEP_2) | instskip(NEXT) | instid1(VALU_DEP_2)
	v_mad_u32_u24 v0, 0x64, v2, v0
	v_and_b32_e32 v1, 2, v1
	s_delay_alu instid0(VALU_DEP_1)
	v_lshl_or_b32 v29, v0, 2, v1
	s_waitcnt lgkmcnt(0)
	v_add_nc_u16 v2, v27, 1
	ds_store_b16 v26, v2
	ds_load_u16 v28, v29
	s_waitcnt lgkmcnt(0)
	v_add_nc_u16 v0, v28, 1
	ds_store_b16 v29, v0
	s_waitcnt lgkmcnt(0)
	s_barrier
	buffer_gl0_inv
	ds_load_2addr_b64 v[4:7], v18 offset1:1
	ds_load_2addr_b64 v[0:3], v18 offset0:2 offset1:3
	s_waitcnt lgkmcnt(1)
	v_add_nc_u32_e32 v30, v5, v4
	s_delay_alu instid0(VALU_DEP_1) | instskip(SKIP_1) | instid1(VALU_DEP_1)
	v_add3_u32 v30, v30, v6, v7
	s_waitcnt lgkmcnt(0)
	v_add3_u32 v30, v30, v0, v1
	s_delay_alu instid0(VALU_DEP_1) | instskip(NEXT) | instid1(VALU_DEP_1)
	v_add3_u32 v3, v30, v2, v3
	v_mov_b32_dpp v30, v3 row_shr:1 row_mask:0xf bank_mask:0xf
	s_delay_alu instid0(VALU_DEP_1) | instskip(NEXT) | instid1(VALU_DEP_1)
	v_cndmask_b32_e64 v30, v30, 0, s9
	v_add_nc_u32_e32 v3, v30, v3
	s_delay_alu instid0(VALU_DEP_1) | instskip(NEXT) | instid1(VALU_DEP_1)
	v_mov_b32_dpp v30, v3 row_shr:2 row_mask:0xf bank_mask:0xf
	v_cndmask_b32_e64 v30, 0, v30, s6
	s_delay_alu instid0(VALU_DEP_1) | instskip(NEXT) | instid1(VALU_DEP_1)
	v_add_nc_u32_e32 v3, v3, v30
	v_mov_b32_dpp v30, v3 row_shr:4 row_mask:0xf bank_mask:0xf
	s_delay_alu instid0(VALU_DEP_1) | instskip(NEXT) | instid1(VALU_DEP_1)
	v_cndmask_b32_e64 v30, 0, v30, s7
	v_add_nc_u32_e32 v3, v3, v30
	s_delay_alu instid0(VALU_DEP_1) | instskip(NEXT) | instid1(VALU_DEP_1)
	v_mov_b32_dpp v30, v3 row_shr:8 row_mask:0xf bank_mask:0xf
	v_cndmask_b32_e64 v30, 0, v30, s10
	s_delay_alu instid0(VALU_DEP_1) | instskip(SKIP_3) | instid1(VALU_DEP_1)
	v_add_nc_u32_e32 v3, v3, v30
	ds_swizzle_b32 v30, v3 offset:swizzle(BROADCAST,32,15)
	s_waitcnt lgkmcnt(0)
	v_cndmask_b32_e64 v30, v30, 0, s8
	v_add_nc_u32_e32 v3, v3, v30
	s_and_saveexec_b32 s6, s5
	s_cbranch_execz .LBB37_79
; %bb.78:
	ds_store_b32 v20, v3 offset:3200
.LBB37_79:
	s_or_b32 exec_lo, exec_lo, s6
	s_waitcnt lgkmcnt(0)
	s_barrier
	buffer_gl0_inv
	s_and_saveexec_b32 s5, s2
	s_cbranch_execz .LBB37_81
; %bb.80:
	ds_load_b32 v30, v21 offset:3200
	s_waitcnt lgkmcnt(0)
	v_mov_b32_dpp v31, v30 row_shr:1 row_mask:0xf bank_mask:0xf
	s_delay_alu instid0(VALU_DEP_1) | instskip(NEXT) | instid1(VALU_DEP_1)
	v_cndmask_b32_e64 v31, v31, 0, s4
	v_add_nc_u32_e32 v30, v31, v30
	s_delay_alu instid0(VALU_DEP_1) | instskip(NEXT) | instid1(VALU_DEP_1)
	v_mov_b32_dpp v31, v30 row_shr:2 row_mask:0xf bank_mask:0xf
	v_cndmask_b32_e64 v31, 0, v31, s3
	s_delay_alu instid0(VALU_DEP_1)
	v_add_nc_u32_e32 v30, v30, v31
	ds_store_b32 v21, v30 offset:3200
.LBB37_81:
	s_or_b32 exec_lo, exec_lo, s5
	v_dual_mov_b32 v21, 0 :: v_dual_mov_b32 v30, 0
	s_waitcnt lgkmcnt(0)
	s_barrier
	buffer_gl0_inv
	s_and_saveexec_b32 s2, s1
	s_cbranch_execz .LBB37_83
; %bb.82:
	ds_load_b32 v30, v20 offset:3196
.LBB37_83:
	s_or_b32 exec_lo, exec_lo, s2
	s_waitcnt lgkmcnt(0)
	v_add_nc_u32_e32 v3, v30, v3
	ds_bpermute_b32 v3, v19, v3
	ds_load_b32 v19, v21 offset:3212
	s_waitcnt lgkmcnt(1)
	v_cndmask_b32_e64 v3, v3, v30, s0
	s_waitcnt lgkmcnt(0)
	s_delay_alu instid0(VALU_DEP_1) | instskip(NEXT) | instid1(VALU_DEP_1)
	v_lshl_add_u32 v3, v19, 16, v3
	v_add_nc_u32_e32 v4, v3, v4
	s_delay_alu instid0(VALU_DEP_1) | instskip(NEXT) | instid1(VALU_DEP_1)
	v_add_nc_u32_e32 v5, v4, v5
	v_add_nc_u32_e32 v6, v5, v6
	s_delay_alu instid0(VALU_DEP_1) | instskip(NEXT) | instid1(VALU_DEP_1)
	v_add_nc_u32_e32 v19, v6, v7
	;; [unrolled: 3-line block ×3, first 2 shown]
	v_add_nc_u32_e32 v1, v0, v2
	ds_store_2addr_b64 v18, v[3:4], v[5:6] offset1:1
	ds_store_2addr_b64 v18, v[19:20], v[0:1] offset0:2 offset1:3
	s_waitcnt lgkmcnt(0)
	s_barrier
	buffer_gl0_inv
	ds_load_u16 v0, v22
	ds_load_u16 v1, v26
	;; [unrolled: 1-line block ×3, first 2 shown]
	v_and_b32_e32 v3, 0xffff, v25
	v_and_b32_e32 v4, 0xffff, v27
	;; [unrolled: 1-line block ×3, first 2 shown]
	s_waitcnt lgkmcnt(0)
	s_barrier
	buffer_gl0_inv
	v_add_lshl_u32 v0, v0, v3, 1
	v_add_lshl_u32 v3, v1, v4, 1
	v_add_lshl_u32 v4, v2, v5, 1
	ds_store_b16 v0, v11
	ds_store_b16 v3, v23
	ds_store_b16 v4, v24
	s_waitcnt lgkmcnt(0)
	s_barrier
	buffer_gl0_inv
	ds_load_b32 v1, v17
	ds_load_u16 v2, v17 offset:4
	v_add_nc_u32_e32 v0, v0, v0
	v_add_nc_u32_e32 v3, v3, v3
	;; [unrolled: 1-line block ×3, first 2 shown]
	s_waitcnt lgkmcnt(0)
	s_barrier
	buffer_gl0_inv
	ds_store_b32 v0, v8
	ds_store_b32 v3, v9
	;; [unrolled: 1-line block ×3, first 2 shown]
	s_waitcnt lgkmcnt(0)
	s_barrier
.LBB37_84:
	s_waitcnt vmcnt(0)
	buffer_gl0_inv
	ds_load_2addr_b32 v[3:4], v16 offset1:1
	ds_load_b32 v5, v16 offset:8
	s_clause 0x1
	global_store_b16 v[14:15], v2, off offset:4
	global_store_b32 v[14:15], v1, off
	s_waitcnt lgkmcnt(0)
	global_store_b96 v[12:13], v[3:5], off
	s_nop 0
	s_sendmsg sendmsg(MSG_DEALLOC_VGPRS)
	s_endpgm
	.section	.rodata,"a",@progbits
	.p2align	6, 0x0
	.amdhsa_kernel _Z21sort_key_value_kernelILj100ELj3ELb0ELb0EtiEvPT3_PT4_jj
		.amdhsa_group_segment_fixed_size 3216
		.amdhsa_private_segment_fixed_size 0
		.amdhsa_kernarg_size 24
		.amdhsa_user_sgpr_count 15
		.amdhsa_user_sgpr_dispatch_ptr 0
		.amdhsa_user_sgpr_queue_ptr 0
		.amdhsa_user_sgpr_kernarg_segment_ptr 1
		.amdhsa_user_sgpr_dispatch_id 0
		.amdhsa_user_sgpr_private_segment_size 0
		.amdhsa_wavefront_size32 1
		.amdhsa_uses_dynamic_stack 0
		.amdhsa_enable_private_segment 0
		.amdhsa_system_sgpr_workgroup_id_x 1
		.amdhsa_system_sgpr_workgroup_id_y 0
		.amdhsa_system_sgpr_workgroup_id_z 0
		.amdhsa_system_sgpr_workgroup_info 0
		.amdhsa_system_vgpr_workitem_id 0
		.amdhsa_next_free_vgpr 38
		.amdhsa_next_free_sgpr 27
		.amdhsa_reserve_vcc 1
		.amdhsa_float_round_mode_32 0
		.amdhsa_float_round_mode_16_64 0
		.amdhsa_float_denorm_mode_32 3
		.amdhsa_float_denorm_mode_16_64 3
		.amdhsa_dx10_clamp 1
		.amdhsa_ieee_mode 1
		.amdhsa_fp16_overflow 0
		.amdhsa_workgroup_processor_mode 1
		.amdhsa_memory_ordered 1
		.amdhsa_forward_progress 0
		.amdhsa_shared_vgpr_count 0
		.amdhsa_exception_fp_ieee_invalid_op 0
		.amdhsa_exception_fp_denorm_src 0
		.amdhsa_exception_fp_ieee_div_zero 0
		.amdhsa_exception_fp_ieee_overflow 0
		.amdhsa_exception_fp_ieee_underflow 0
		.amdhsa_exception_fp_ieee_inexact 0
		.amdhsa_exception_int_div_zero 0
	.end_amdhsa_kernel
	.section	.text._Z21sort_key_value_kernelILj100ELj3ELb0ELb0EtiEvPT3_PT4_jj,"axG",@progbits,_Z21sort_key_value_kernelILj100ELj3ELb0ELb0EtiEvPT3_PT4_jj,comdat
.Lfunc_end37:
	.size	_Z21sort_key_value_kernelILj100ELj3ELb0ELb0EtiEvPT3_PT4_jj, .Lfunc_end37-_Z21sort_key_value_kernelILj100ELj3ELb0ELb0EtiEvPT3_PT4_jj
                                        ; -- End function
	.section	.AMDGPU.csdata,"",@progbits
; Kernel info:
; codeLenInByte = 6636
; NumSgprs: 29
; NumVgprs: 38
; ScratchSize: 0
; MemoryBound: 0
; FloatMode: 240
; IeeeMode: 1
; LDSByteSize: 3216 bytes/workgroup (compile time only)
; SGPRBlocks: 3
; VGPRBlocks: 4
; NumSGPRsForWavesPerEU: 29
; NumVGPRsForWavesPerEU: 38
; Occupancy: 16
; WaveLimiterHint : 0
; COMPUTE_PGM_RSRC2:SCRATCH_EN: 0
; COMPUTE_PGM_RSRC2:USER_SGPR: 15
; COMPUTE_PGM_RSRC2:TRAP_HANDLER: 0
; COMPUTE_PGM_RSRC2:TGID_X_EN: 1
; COMPUTE_PGM_RSRC2:TGID_Y_EN: 0
; COMPUTE_PGM_RSRC2:TGID_Z_EN: 0
; COMPUTE_PGM_RSRC2:TIDIG_COMP_CNT: 0
	.section	.text._Z21sort_key_value_kernelILj464ELj2ELb1ELb1EcdEvPT3_PT4_jj,"axG",@progbits,_Z21sort_key_value_kernelILj464ELj2ELb1ELb1EcdEvPT3_PT4_jj,comdat
	.protected	_Z21sort_key_value_kernelILj464ELj2ELb1ELb1EcdEvPT3_PT4_jj ; -- Begin function _Z21sort_key_value_kernelILj464ELj2ELb1ELb1EcdEvPT3_PT4_jj
	.globl	_Z21sort_key_value_kernelILj464ELj2ELb1ELb1EcdEvPT3_PT4_jj
	.p2align	8
	.type	_Z21sort_key_value_kernelILj464ELj2ELb1ELb1EcdEvPT3_PT4_jj,@function
_Z21sort_key_value_kernelILj464ELj2ELb1ELb1EcdEvPT3_PT4_jj: ; @_Z21sort_key_value_kernelILj464ELj2ELb1ELb1EcdEvPT3_PT4_jj
; %bb.0:
	s_clause 0x1
	s_load_b128 s[4:7], s[0:1], 0x0
	s_load_b64 s[16:17], s[0:1], 0x10
	s_mul_i32 s2, s15, 0x3a0
	v_lshlrev_b32_e32 v19, 1, v0
	s_mov_b32 s3, 0
	v_lshlrev_b32_e32 v1, 4, v0
	v_mbcnt_lo_u32_b32 v23, -1, 0
	v_lshlrev_b32_e32 v17, 5, v0
	v_and_b32_e32 v25, 0x1e0, v0
	v_lshrrev_b32_e32 v24, 3, v0
	v_lshlrev_b32_e32 v18, 2, v0
	v_lshrrev_b32_e32 v22, 4, v0
	s_waitcnt lgkmcnt(0)
	s_add_u32 s12, s4, s2
	s_addc_u32 s13, s5, 0
	s_lshl_b64 s[0:1], s[2:3], 3
	global_load_u16 v5, v19, s[12:13]
	s_add_u32 s14, s6, s0
	s_addc_u32 s15, s7, s1
	s_cmp_lg_u32 s16, 0
	global_load_b128 v[1:4], v1, s[14:15]
	s_cselect_b32 s2, -1, 0
	s_cmp_lg_u32 s17, 8
	v_cmp_gt_u32_e64 s0, 15, v0
	s_cselect_b32 s3, -1, 0
	v_cmp_lt_u32_e64 s1, 31, v0
	s_or_b32 s3, s2, s3
	v_cmp_gt_u32_e64 s2, 0x3a0, v0
	s_and_b32 vcc_lo, exec_lo, s3
	v_cmp_gt_u32_e64 s3, 0x1d0, v0
	s_waitcnt vmcnt(1)
	v_lshrrev_b16 v6, 8, v5
	v_xor_b32_e32 v20, 0x7f, v5
	s_delay_alu instid0(VALU_DEP_2)
	v_xor_b32_e32 v21, 0x7f, v6
	s_cbranch_vccz .LBB38_15
; %bb.1:
	s_delay_alu instid0(VALU_DEP_1) | instskip(NEXT) | instid1(VALU_DEP_3)
	v_lshlrev_b16 v5, 8, v21
	v_and_b32_e32 v6, 0xff, v20
	v_min_u32_e32 v9, 0x1b0, v25
	v_dual_mov_b32 v32, 0 :: v_dual_and_b32 v7, 15, v23
	v_and_b32_e32 v8, 16, v23
	s_delay_alu instid0(VALU_DEP_4)
	v_or_b32_e32 v5, v6, v5
	v_add_nc_u32_e32 v6, -1, v23
	v_sub_nc_u32_e32 v26, v18, v19
	v_cmp_eq_u32_e64 s4, 0, v7
	v_cmp_lt_u32_e64 s5, 1, v7
	v_cmp_lt_u32_e64 s6, 3, v7
	v_cmp_gt_i32_e32 vcc_lo, 0, v6
	v_and_b32_e32 v27, 0xffff, v5
	v_add_nc_u32_e32 v5, 31, v9
	v_cmp_lt_u32_e64 s7, 7, v7
	v_cmp_eq_u32_e64 s8, 0, v8
	s_waitcnt vmcnt(0)
	v_mov_b32_e32 v8, v4
	v_cndmask_b32_e32 v6, v6, v23, vcc_lo
	v_cmp_eq_u32_e64 s9, v5, v0
	v_and_b32_e32 v29, 60, v24
	v_cmp_eq_u32_e64 s10, 0, v23
	v_add_lshl_u32 v30, v22, v19, 3
	v_lshlrev_b32_e32 v28, 2, v6
	v_mov_b32_e32 v6, v2
	v_add_nc_u32_e32 v31, v26, v19
	v_mov_b32_e32 v5, v1
	v_mov_b32_e32 v7, v3
	s_sub_i32 s11, s17, s16
	s_branch .LBB38_3
.LBB38_2:                               ;   in Loop: Header=BB38_3 Depth=1
	s_delay_alu instid0(VALU_DEP_2) | instskip(NEXT) | instid1(VALU_DEP_2)
	v_lshrrev_b32_e32 v5, 2, v10
	v_lshrrev_b32_e32 v6, 2, v9
	s_barrier
	buffer_gl0_inv
	ds_store_b8 v10, v27
	ds_store_b8 v9, v33
	v_and_b32_e32 v5, 0x7ff8, v5
	v_and_b32_e32 v6, 0x7ff8, v6
	s_waitcnt lgkmcnt(0)
	s_barrier
	buffer_gl0_inv
	v_lshl_add_u32 v5, v10, 3, v5
	v_lshl_add_u32 v6, v9, 3, v6
	ds_load_u16 v27, v26
	s_waitcnt lgkmcnt(0)
	s_barrier
	buffer_gl0_inv
	ds_store_b64 v5, v[15:16]
	ds_store_b64 v6, v[13:14]
	s_waitcnt lgkmcnt(0)
	s_barrier
	buffer_gl0_inv
	ds_load_2addr_b64 v[5:8], v30 offset1:1
	s_add_i32 s11, s11, -4
	s_waitcnt lgkmcnt(0)
	s_barrier
	buffer_gl0_inv
	s_cbranch_execz .LBB38_14
.LBB38_3:                               ; =>This Inner Loop Header: Depth=1
	s_delay_alu instid0(VALU_DEP_1)
	v_dual_mov_b32 v14, v8 :: v_dual_mov_b32 v13, v7
	v_dual_mov_b32 v16, v6 :: v_dual_mov_b32 v15, v5
	ds_store_b32 v31, v32
	ds_store_b32 v31, v32 offset:1856
	ds_store_b32 v31, v32 offset:3712
	;; [unrolled: 1-line block ×5, first 2 shown]
	s_and_saveexec_b32 s18, s2
	s_cbranch_execz .LBB38_6
; %bb.4:                                ;   in Loop: Header=BB38_3 Depth=1
	ds_store_b32 v31, v32 offset:11136
	s_and_b32 exec_lo, exec_lo, s3
	s_cbranch_execz .LBB38_6
; %bb.5:                                ;   in Loop: Header=BB38_3 Depth=1
	ds_store_b32 v31, v32 offset:12992
.LBB38_6:                               ;   in Loop: Header=BB38_3 Depth=1
	s_or_b32 exec_lo, exec_lo, s18
	v_and_b32_e32 v5, 0xff, v27
	s_min_u32 s18, s11, 4
	v_lshrrev_b16 v33, 8, v27
	s_lshl_b32 s18, -1, s18
	s_delay_alu instid0(SALU_CYCLE_1) | instskip(SKIP_1) | instid1(VALU_DEP_2)
	s_not_b32 s18, s18
	v_lshrrev_b32_e32 v5, s16, v5
	v_and_b32_e32 v7, 0xffff, v33
	s_delay_alu instid0(VALU_DEP_2) | instskip(NEXT) | instid1(VALU_DEP_1)
	v_and_b32_e32 v5, s18, v5
	v_and_b32_e32 v6, 7, v5
	v_lshrrev_b32_e32 v5, 3, v5
	s_delay_alu instid0(VALU_DEP_2) | instskip(NEXT) | instid1(VALU_DEP_1)
	v_mul_u32_u24_e32 v6, 0x1d0, v6
	v_add_lshl_u32 v6, v6, v0, 1
	s_delay_alu instid0(VALU_DEP_1) | instskip(SKIP_3) | instid1(VALU_DEP_1)
	v_add_lshl_u32 v35, v6, v5, 1
	v_lshrrev_b32_e32 v5, s16, v7
	ds_load_u16 v34, v35
	v_and_b32_e32 v5, s18, v5
	v_and_b32_e32 v6, 7, v5
	v_lshrrev_b32_e32 v5, 3, v5
	s_delay_alu instid0(VALU_DEP_2) | instskip(NEXT) | instid1(VALU_DEP_1)
	v_mul_u32_u24_e32 v6, 0x1d0, v6
	v_add_lshl_u32 v6, v6, v0, 1
	s_waitcnt lgkmcnt(0)
	v_add_nc_u16 v7, v34, 1
	s_delay_alu instid0(VALU_DEP_2)
	v_add_lshl_u32 v36, v6, v5, 1
	ds_store_b16 v35, v7
	ds_load_u16 v37, v36
	s_waitcnt lgkmcnt(0)
	v_add_nc_u16 v5, v37, 1
	ds_store_b16 v36, v5
	s_waitcnt lgkmcnt(0)
	s_barrier
	buffer_gl0_inv
	ds_load_2addr_b64 v[9:12], v17 offset1:1
	ds_load_2addr_b64 v[5:8], v17 offset0:2 offset1:3
	s_waitcnt lgkmcnt(1)
	v_add_nc_u32_e32 v38, v10, v9
	s_delay_alu instid0(VALU_DEP_1) | instskip(SKIP_1) | instid1(VALU_DEP_1)
	v_add3_u32 v38, v38, v11, v12
	s_waitcnt lgkmcnt(0)
	v_add3_u32 v38, v38, v5, v6
	s_delay_alu instid0(VALU_DEP_1) | instskip(NEXT) | instid1(VALU_DEP_1)
	v_add3_u32 v8, v38, v7, v8
	v_mov_b32_dpp v38, v8 row_shr:1 row_mask:0xf bank_mask:0xf
	s_delay_alu instid0(VALU_DEP_1) | instskip(NEXT) | instid1(VALU_DEP_1)
	v_cndmask_b32_e64 v38, v38, 0, s4
	v_add_nc_u32_e32 v8, v38, v8
	s_delay_alu instid0(VALU_DEP_1) | instskip(NEXT) | instid1(VALU_DEP_1)
	v_mov_b32_dpp v38, v8 row_shr:2 row_mask:0xf bank_mask:0xf
	v_cndmask_b32_e64 v38, 0, v38, s5
	s_delay_alu instid0(VALU_DEP_1) | instskip(NEXT) | instid1(VALU_DEP_1)
	v_add_nc_u32_e32 v8, v8, v38
	v_mov_b32_dpp v38, v8 row_shr:4 row_mask:0xf bank_mask:0xf
	s_delay_alu instid0(VALU_DEP_1) | instskip(NEXT) | instid1(VALU_DEP_1)
	v_cndmask_b32_e64 v38, 0, v38, s6
	v_add_nc_u32_e32 v8, v8, v38
	s_delay_alu instid0(VALU_DEP_1) | instskip(NEXT) | instid1(VALU_DEP_1)
	v_mov_b32_dpp v38, v8 row_shr:8 row_mask:0xf bank_mask:0xf
	v_cndmask_b32_e64 v38, 0, v38, s7
	s_delay_alu instid0(VALU_DEP_1) | instskip(SKIP_3) | instid1(VALU_DEP_1)
	v_add_nc_u32_e32 v8, v8, v38
	ds_swizzle_b32 v38, v8 offset:swizzle(BROADCAST,32,15)
	s_waitcnt lgkmcnt(0)
	v_cndmask_b32_e64 v38, v38, 0, s8
	v_add_nc_u32_e32 v8, v8, v38
	s_and_saveexec_b32 s18, s9
	s_cbranch_execz .LBB38_8
; %bb.7:                                ;   in Loop: Header=BB38_3 Depth=1
	ds_store_b32 v29, v8 offset:14848
.LBB38_8:                               ;   in Loop: Header=BB38_3 Depth=1
	s_or_b32 exec_lo, exec_lo, s18
	s_waitcnt lgkmcnt(0)
	s_barrier
	buffer_gl0_inv
	s_and_saveexec_b32 s18, s0
	s_cbranch_execz .LBB38_10
; %bb.9:                                ;   in Loop: Header=BB38_3 Depth=1
	ds_load_b32 v38, v18 offset:14848
	s_waitcnt lgkmcnt(0)
	v_mov_b32_dpp v39, v38 row_shr:1 row_mask:0xf bank_mask:0xf
	s_delay_alu instid0(VALU_DEP_1) | instskip(NEXT) | instid1(VALU_DEP_1)
	v_cndmask_b32_e64 v39, v39, 0, s4
	v_add_nc_u32_e32 v38, v39, v38
	s_delay_alu instid0(VALU_DEP_1) | instskip(NEXT) | instid1(VALU_DEP_1)
	v_mov_b32_dpp v39, v38 row_shr:2 row_mask:0xf bank_mask:0xf
	v_cndmask_b32_e64 v39, 0, v39, s5
	s_delay_alu instid0(VALU_DEP_1) | instskip(NEXT) | instid1(VALU_DEP_1)
	v_add_nc_u32_e32 v38, v38, v39
	v_mov_b32_dpp v39, v38 row_shr:4 row_mask:0xf bank_mask:0xf
	s_delay_alu instid0(VALU_DEP_1) | instskip(NEXT) | instid1(VALU_DEP_1)
	v_cndmask_b32_e64 v39, 0, v39, s6
	v_add_nc_u32_e32 v38, v38, v39
	s_delay_alu instid0(VALU_DEP_1) | instskip(NEXT) | instid1(VALU_DEP_1)
	v_mov_b32_dpp v39, v38 row_shr:8 row_mask:0xf bank_mask:0xf
	v_cndmask_b32_e64 v39, 0, v39, s7
	s_delay_alu instid0(VALU_DEP_1)
	v_add_nc_u32_e32 v38, v38, v39
	ds_store_b32 v18, v38 offset:14848
.LBB38_10:                              ;   in Loop: Header=BB38_3 Depth=1
	s_or_b32 exec_lo, exec_lo, s18
	v_mov_b32_e32 v38, 0
	s_waitcnt lgkmcnt(0)
	s_barrier
	buffer_gl0_inv
	s_and_saveexec_b32 s18, s1
	s_cbranch_execz .LBB38_12
; %bb.11:                               ;   in Loop: Header=BB38_3 Depth=1
	ds_load_b32 v38, v29 offset:14844
.LBB38_12:                              ;   in Loop: Header=BB38_3 Depth=1
	s_or_b32 exec_lo, exec_lo, s18
	s_waitcnt lgkmcnt(0)
	v_add_nc_u32_e32 v8, v38, v8
	ds_load_b32 v39, v32 offset:14904
	s_add_i32 s16, s16, 4
	s_delay_alu instid0(SALU_CYCLE_1) | instskip(SKIP_3) | instid1(VALU_DEP_1)
	s_cmp_ge_u32 s16, s17
	ds_bpermute_b32 v8, v28, v8
	s_waitcnt lgkmcnt(0)
	v_cndmask_b32_e64 v8, v8, v38, s10
	v_lshl_add_u32 v8, v39, 16, v8
	s_delay_alu instid0(VALU_DEP_1) | instskip(NEXT) | instid1(VALU_DEP_1)
	v_add_nc_u32_e32 v9, v8, v9
	v_add_nc_u32_e32 v10, v9, v10
	s_delay_alu instid0(VALU_DEP_1) | instskip(NEXT) | instid1(VALU_DEP_1)
	v_add_nc_u32_e32 v11, v10, v11
	v_add_nc_u32_e32 v38, v11, v12
	;; [unrolled: 3-line block ×3, first 2 shown]
	s_delay_alu instid0(VALU_DEP_1)
	v_add_nc_u32_e32 v6, v5, v7
	v_and_b32_e32 v7, 0xffff, v34
	ds_store_2addr_b64 v17, v[8:9], v[10:11] offset1:1
	ds_store_2addr_b64 v17, v[38:39], v[5:6] offset0:2 offset1:3
	v_mov_b32_e32 v11, v27
	s_waitcnt lgkmcnt(0)
	s_barrier
	buffer_gl0_inv
	ds_load_u16 v5, v35
	ds_load_u16 v6, v36
	v_and_b32_e32 v8, 0xffff, v37
	s_waitcnt lgkmcnt(0)
	v_add_nc_u32_e32 v10, v5, v7
	s_delay_alu instid0(VALU_DEP_2)
	v_add_nc_u32_e32 v9, v6, v8
	s_cbranch_scc0 .LBB38_2
; %bb.13:
                                        ; implicit-def: $vgpr27
                                        ; implicit-def: $vgpr7_vgpr8
                                        ; implicit-def: $sgpr11
.LBB38_14:
	s_barrier
	buffer_gl0_inv
	ds_store_b8 v10, v11
	ds_store_b8 v9, v33
	s_waitcnt lgkmcnt(0)
	s_barrier
	buffer_gl0_inv
	ds_load_u8 v5, v0 offset:464
	ds_load_u8 v6, v0
	v_mad_u32_u24 v8, v9, 7, v9
	s_waitcnt lgkmcnt(0)
	s_barrier
	buffer_gl0_inv
	v_lshlrev_b16 v7, 8, v5
	v_add_nc_u32_e32 v5, 0x1d0, v0
	s_delay_alu instid0(VALU_DEP_2)
	v_or_b32_e32 v6, v6, v7
	v_mad_u32_u24 v7, v10, 7, v10
	ds_store_b64 v7, v[15:16]
	ds_store_b64 v8, v[13:14]
	v_and_b32_e32 v6, 0xffff, v6
	s_waitcnt lgkmcnt(0)
	s_barrier
	s_branch .LBB38_35
.LBB38_15:
                                        ; implicit-def: $vgpr5
                                        ; implicit-def: $vgpr6
	s_cbranch_execz .LBB38_35
; %bb.16:
	v_mad_i32_i24 v13, 0xffffffe4, v0, v17
	v_mov_b32_e32 v5, 0
	v_cmp_gt_u32_e64 s3, 0x3a0, v0
	ds_store_b32 v13, v5
	ds_store_b32 v13, v5 offset:1856
	ds_store_b32 v13, v5 offset:3712
	;; [unrolled: 1-line block ×5, first 2 shown]
	s_and_saveexec_b32 s0, s3
	s_cbranch_execz .LBB38_19
; %bb.17:
	v_cmp_gt_u32_e32 vcc_lo, 0x1d0, v0
	ds_store_b32 v13, v5 offset:11136
	s_and_b32 exec_lo, exec_lo, vcc_lo
	s_cbranch_execz .LBB38_19
; %bb.18:
	v_mov_b32_e32 v5, 0
	ds_store_b32 v13, v5 offset:12992
.LBB38_19:
	s_or_b32 exec_lo, exec_lo, s0
	v_and_b32_e32 v5, 7, v20
	v_lshrrev_b16 v6, 2, v20
	v_and_b32_e32 v29, 16, v23
	s_delay_alu instid0(VALU_DEP_3) | instskip(NEXT) | instid1(VALU_DEP_3)
	v_mad_u32_u24 v5, 0x1d0, v5, v0
	v_and_b32_e32 v6, 2, v6
	s_delay_alu instid0(VALU_DEP_3) | instskip(NEXT) | instid1(VALU_DEP_2)
	v_cmp_eq_u32_e64 s7, 0, v29
	v_lshl_or_b32 v26, v5, 2, v6
	v_and_b32_e32 v5, 7, v21
	v_lshrrev_b16 v6, 2, v21
	ds_load_u16 v16, v26
	v_mad_u32_u24 v5, 0x1d0, v5, v0
	v_and_b32_e32 v6, 2, v6
	s_delay_alu instid0(VALU_DEP_1)
	v_lshl_or_b32 v27, v5, 2, v6
	s_waitcnt lgkmcnt(0)
	v_add_nc_u16 v7, v16, 1
	ds_store_b16 v26, v7
	ds_load_u16 v28, v27
	s_waitcnt lgkmcnt(0)
	v_add_nc_u16 v5, v28, 1
	ds_store_b16 v27, v5
	s_waitcnt vmcnt(0) lgkmcnt(0)
	s_barrier
	buffer_gl0_inv
	ds_load_2addr_b64 v[9:12], v17 offset1:1
	ds_load_2addr_b64 v[5:8], v17 offset0:2 offset1:3
	s_waitcnt lgkmcnt(1)
	v_add_nc_u32_e32 v14, v10, v9
	s_delay_alu instid0(VALU_DEP_1) | instskip(SKIP_1) | instid1(VALU_DEP_1)
	v_add3_u32 v14, v14, v11, v12
	s_waitcnt lgkmcnt(0)
	v_add3_u32 v14, v14, v5, v6
	s_delay_alu instid0(VALU_DEP_1) | instskip(SKIP_1) | instid1(VALU_DEP_2)
	v_add3_u32 v8, v14, v7, v8
	v_and_b32_e32 v14, 15, v23
	v_mov_b32_dpp v15, v8 row_shr:1 row_mask:0xf bank_mask:0xf
	s_delay_alu instid0(VALU_DEP_2) | instskip(SKIP_4) | instid1(VALU_DEP_1)
	v_cmp_eq_u32_e32 vcc_lo, 0, v14
	v_cmp_lt_u32_e64 s0, 1, v14
	v_cmp_lt_u32_e64 s1, 3, v14
	;; [unrolled: 1-line block ×3, first 2 shown]
	v_cndmask_b32_e64 v15, v15, 0, vcc_lo
	v_add_nc_u32_e32 v8, v15, v8
	s_delay_alu instid0(VALU_DEP_1) | instskip(NEXT) | instid1(VALU_DEP_1)
	v_mov_b32_dpp v15, v8 row_shr:2 row_mask:0xf bank_mask:0xf
	v_cndmask_b32_e64 v15, 0, v15, s0
	s_delay_alu instid0(VALU_DEP_1) | instskip(NEXT) | instid1(VALU_DEP_1)
	v_add_nc_u32_e32 v8, v8, v15
	v_mov_b32_dpp v15, v8 row_shr:4 row_mask:0xf bank_mask:0xf
	s_delay_alu instid0(VALU_DEP_1) | instskip(NEXT) | instid1(VALU_DEP_1)
	v_cndmask_b32_e64 v15, 0, v15, s1
	v_add_nc_u32_e32 v8, v8, v15
	s_delay_alu instid0(VALU_DEP_1) | instskip(NEXT) | instid1(VALU_DEP_1)
	v_mov_b32_dpp v15, v8 row_shr:8 row_mask:0xf bank_mask:0xf
	v_cndmask_b32_e64 v14, 0, v15, s2
	v_min_u32_e32 v15, 0x1b0, v25
	v_bfe_i32 v25, v23, 4, 1
	s_delay_alu instid0(VALU_DEP_3) | instskip(NEXT) | instid1(VALU_DEP_3)
	v_add_nc_u32_e32 v8, v8, v14
	v_add_nc_u32_e32 v15, 31, v15
	ds_swizzle_b32 v14, v8 offset:swizzle(BROADCAST,32,15)
	v_cmp_eq_u32_e64 s5, v15, v0
	s_waitcnt lgkmcnt(0)
	v_and_b32_e32 v25, v25, v14
	v_and_b32_e32 v14, 60, v24
	s_delay_alu instid0(VALU_DEP_2)
	v_add_nc_u32_e32 v15, v8, v25
	s_and_saveexec_b32 s4, s5
	s_cbranch_execz .LBB38_21
; %bb.20:
	ds_store_b32 v14, v15 offset:14848
.LBB38_21:
	s_or_b32 exec_lo, exec_lo, s4
	v_cmp_gt_u32_e64 s6, 15, v0
	s_waitcnt lgkmcnt(0)
	s_barrier
	buffer_gl0_inv
	s_and_saveexec_b32 s4, s6
	s_cbranch_execz .LBB38_23
; %bb.22:
	ds_load_b32 v8, v13 offset:14848
	s_waitcnt lgkmcnt(0)
	v_mov_b32_dpp v24, v8 row_shr:1 row_mask:0xf bank_mask:0xf
	s_delay_alu instid0(VALU_DEP_1) | instskip(NEXT) | instid1(VALU_DEP_1)
	v_cndmask_b32_e64 v24, v24, 0, vcc_lo
	v_add_nc_u32_e32 v8, v24, v8
	s_delay_alu instid0(VALU_DEP_1) | instskip(NEXT) | instid1(VALU_DEP_1)
	v_mov_b32_dpp v24, v8 row_shr:2 row_mask:0xf bank_mask:0xf
	v_cndmask_b32_e64 v24, 0, v24, s0
	s_delay_alu instid0(VALU_DEP_1) | instskip(NEXT) | instid1(VALU_DEP_1)
	v_add_nc_u32_e32 v8, v8, v24
	v_mov_b32_dpp v24, v8 row_shr:4 row_mask:0xf bank_mask:0xf
	s_delay_alu instid0(VALU_DEP_1) | instskip(NEXT) | instid1(VALU_DEP_1)
	v_cndmask_b32_e64 v24, 0, v24, s1
	v_add_nc_u32_e32 v8, v8, v24
	s_delay_alu instid0(VALU_DEP_1) | instskip(NEXT) | instid1(VALU_DEP_1)
	v_mov_b32_dpp v24, v8 row_shr:8 row_mask:0xf bank_mask:0xf
	v_cndmask_b32_e64 v24, 0, v24, s2
	s_delay_alu instid0(VALU_DEP_1)
	v_add_nc_u32_e32 v8, v8, v24
	ds_store_b32 v13, v8 offset:14848
.LBB38_23:
	s_or_b32 exec_lo, exec_lo, s4
	v_sub_nc_u32_e32 v24, 0, v19
	v_cmp_lt_u32_e64 s4, 31, v0
	v_dual_mov_b32 v8, 0 :: v_dual_mov_b32 v25, 0
	s_waitcnt lgkmcnt(0)
	s_barrier
	buffer_gl0_inv
	s_and_saveexec_b32 s8, s4
	s_cbranch_execz .LBB38_25
; %bb.24:
	ds_load_b32 v25, v14 offset:14844
.LBB38_25:
	s_or_b32 exec_lo, exec_lo, s8
	v_add_nc_u32_e32 v29, -1, v23
	s_waitcnt lgkmcnt(0)
	v_add_nc_u32_e32 v30, v25, v15
	s_delay_alu instid0(VALU_DEP_2) | instskip(NEXT) | instid1(VALU_DEP_1)
	v_cmp_gt_i32_e64 s8, 0, v29
	v_cndmask_b32_e64 v29, v29, v23, s8
	v_cmp_eq_u32_e64 s8, 0, v23
	s_delay_alu instid0(VALU_DEP_2)
	v_lshlrev_b32_e32 v15, 2, v29
	ds_bpermute_b32 v29, v15, v30
	ds_load_b32 v30, v8 offset:14904
	s_waitcnt lgkmcnt(1)
	v_cndmask_b32_e64 v23, v29, v25, s8
	s_waitcnt lgkmcnt(0)
	s_delay_alu instid0(VALU_DEP_1) | instskip(NEXT) | instid1(VALU_DEP_1)
	v_lshl_add_u32 v29, v30, 16, v23
	v_add_nc_u32_e32 v30, v29, v9
	s_delay_alu instid0(VALU_DEP_1) | instskip(NEXT) | instid1(VALU_DEP_1)
	v_add_nc_u32_e32 v9, v30, v10
	v_add_nc_u32_e32 v10, v9, v11
	s_delay_alu instid0(VALU_DEP_1) | instskip(NEXT) | instid1(VALU_DEP_1)
	v_add_nc_u32_e32 v11, v10, v12
	;; [unrolled: 3-line block ×3, first 2 shown]
	v_add_nc_u32_e32 v6, v5, v7
	v_and_b32_e32 v7, 0xffff, v16
	ds_store_2addr_b64 v17, v[29:30], v[9:10] offset1:1
	ds_store_2addr_b64 v17, v[11:12], v[5:6] offset0:2 offset1:3
	s_waitcnt lgkmcnt(0)
	s_barrier
	buffer_gl0_inv
	ds_load_u16 v5, v26
	ds_load_u16 v6, v27
	v_and_b32_e32 v9, 0xffff, v28
	v_add_lshl_u32 v10, v22, v19, 3
	v_add_nc_u32_e32 v11, v13, v24
	s_waitcnt lgkmcnt(0)
	s_barrier
	buffer_gl0_inv
	v_add_nc_u32_e32 v5, v5, v7
	v_add_nc_u32_e32 v6, v6, v9
	ds_store_b8 v5, v20
	ds_store_b8 v6, v21
	v_lshrrev_b32_e32 v7, 2, v5
	v_lshrrev_b32_e32 v9, 2, v6
	s_waitcnt lgkmcnt(0)
	s_barrier
	buffer_gl0_inv
	v_and_b32_e32 v7, 0x7ff8, v7
	v_and_b32_e32 v9, 0x7ff8, v9
	ds_load_u16 v16, v11
	s_waitcnt lgkmcnt(0)
	s_barrier
	v_lshl_add_u32 v5, v5, 3, v7
	v_lshl_add_u32 v6, v6, 3, v9
	buffer_gl0_inv
	ds_store_b64 v5, v[1:2]
	ds_store_b64 v6, v[3:4]
	s_waitcnt lgkmcnt(0)
	s_barrier
	buffer_gl0_inv
	ds_load_2addr_b64 v[1:4], v10 offset1:1
	s_waitcnt lgkmcnt(0)
	s_barrier
	buffer_gl0_inv
	ds_store_b32 v18, v8
	ds_store_b32 v18, v8 offset:1856
	ds_store_b32 v18, v8 offset:3712
	ds_store_b32 v18, v8 offset:5568
	ds_store_b32 v18, v8 offset:7424
	ds_store_b32 v18, v8 offset:9280
	s_and_saveexec_b32 s9, s3
	s_cbranch_execz .LBB38_28
; %bb.26:
	v_mov_b32_e32 v5, 0
	v_cmp_gt_u32_e64 s3, 0x1d0, v0
	ds_store_b32 v18, v5 offset:11136
	s_and_b32 exec_lo, exec_lo, s3
	s_cbranch_execz .LBB38_28
; %bb.27:
	ds_store_b32 v18, v5 offset:12992
.LBB38_28:
	s_or_b32 exec_lo, exec_lo, s9
	v_lshrrev_b16 v5, 4, v16
	s_delay_alu instid0(VALU_DEP_1) | instskip(NEXT) | instid1(VALU_DEP_1)
	v_and_b32_e32 v5, 15, v5
	v_and_b32_e32 v5, 0xffff, v5
	s_delay_alu instid0(VALU_DEP_1) | instskip(SKIP_1) | instid1(VALU_DEP_2)
	v_and_b32_e32 v6, 7, v5
	v_lshrrev_b32_e32 v5, 2, v5
	v_mad_u32_u24 v6, 0x1d0, v6, v0
	s_delay_alu instid0(VALU_DEP_2) | instskip(NEXT) | instid1(VALU_DEP_1)
	v_and_b32_e32 v5, 2, v5
	v_lshl_or_b32 v18, v6, 2, v5
	v_lshrrev_b16 v5, 12, v16
	ds_load_u16 v19, v18
	v_and_b32_e32 v5, 0xffff, v5
	s_delay_alu instid0(VALU_DEP_1) | instskip(SKIP_1) | instid1(VALU_DEP_2)
	v_and_b32_e32 v6, 7, v5
	v_lshrrev_b32_e32 v5, 2, v5
	v_mad_u32_u24 v6, 0x1d0, v6, v0
	s_delay_alu instid0(VALU_DEP_2) | instskip(NEXT) | instid1(VALU_DEP_1)
	v_and_b32_e32 v5, 2, v5
	v_lshl_or_b32 v20, v6, 2, v5
	s_waitcnt lgkmcnt(0)
	v_add_nc_u16 v7, v19, 1
	ds_store_b16 v18, v7
	ds_load_u16 v21, v20
	s_waitcnt lgkmcnt(0)
	v_add_nc_u16 v5, v21, 1
	ds_store_b16 v20, v5
	s_waitcnt lgkmcnt(0)
	s_barrier
	buffer_gl0_inv
	ds_load_2addr_b64 v[9:12], v17 offset1:1
	ds_load_2addr_b64 v[5:8], v17 offset0:2 offset1:3
	s_waitcnt lgkmcnt(1)
	v_add_nc_u32_e32 v22, v10, v9
	s_delay_alu instid0(VALU_DEP_1) | instskip(SKIP_1) | instid1(VALU_DEP_1)
	v_add3_u32 v22, v22, v11, v12
	s_waitcnt lgkmcnt(0)
	v_add3_u32 v22, v22, v5, v6
	s_delay_alu instid0(VALU_DEP_1) | instskip(NEXT) | instid1(VALU_DEP_1)
	v_add3_u32 v8, v22, v7, v8
	v_mov_b32_dpp v22, v8 row_shr:1 row_mask:0xf bank_mask:0xf
	s_delay_alu instid0(VALU_DEP_1) | instskip(NEXT) | instid1(VALU_DEP_1)
	v_cndmask_b32_e64 v22, v22, 0, vcc_lo
	v_add_nc_u32_e32 v8, v22, v8
	s_delay_alu instid0(VALU_DEP_1) | instskip(NEXT) | instid1(VALU_DEP_1)
	v_mov_b32_dpp v22, v8 row_shr:2 row_mask:0xf bank_mask:0xf
	v_cndmask_b32_e64 v22, 0, v22, s0
	s_delay_alu instid0(VALU_DEP_1) | instskip(NEXT) | instid1(VALU_DEP_1)
	v_add_nc_u32_e32 v8, v8, v22
	v_mov_b32_dpp v22, v8 row_shr:4 row_mask:0xf bank_mask:0xf
	s_delay_alu instid0(VALU_DEP_1) | instskip(NEXT) | instid1(VALU_DEP_1)
	v_cndmask_b32_e64 v22, 0, v22, s1
	v_add_nc_u32_e32 v8, v8, v22
	s_delay_alu instid0(VALU_DEP_1) | instskip(NEXT) | instid1(VALU_DEP_1)
	v_mov_b32_dpp v22, v8 row_shr:8 row_mask:0xf bank_mask:0xf
	v_cndmask_b32_e64 v22, 0, v22, s2
	s_delay_alu instid0(VALU_DEP_1) | instskip(SKIP_3) | instid1(VALU_DEP_1)
	v_add_nc_u32_e32 v8, v8, v22
	ds_swizzle_b32 v22, v8 offset:swizzle(BROADCAST,32,15)
	s_waitcnt lgkmcnt(0)
	v_cndmask_b32_e64 v22, v22, 0, s7
	v_add_nc_u32_e32 v22, v8, v22
	s_and_saveexec_b32 s3, s5
	s_cbranch_execz .LBB38_30
; %bb.29:
	ds_store_b32 v14, v22 offset:14848
.LBB38_30:
	s_or_b32 exec_lo, exec_lo, s3
	s_waitcnt lgkmcnt(0)
	s_barrier
	buffer_gl0_inv
	s_and_saveexec_b32 s3, s6
	s_cbranch_execz .LBB38_32
; %bb.31:
	ds_load_b32 v8, v13 offset:14848
	s_waitcnt lgkmcnt(0)
	v_mov_b32_dpp v23, v8 row_shr:1 row_mask:0xf bank_mask:0xf
	s_delay_alu instid0(VALU_DEP_1) | instskip(NEXT) | instid1(VALU_DEP_1)
	v_cndmask_b32_e64 v23, v23, 0, vcc_lo
	v_add_nc_u32_e32 v8, v23, v8
	s_delay_alu instid0(VALU_DEP_1) | instskip(NEXT) | instid1(VALU_DEP_1)
	v_mov_b32_dpp v23, v8 row_shr:2 row_mask:0xf bank_mask:0xf
	v_cndmask_b32_e64 v23, 0, v23, s0
	s_delay_alu instid0(VALU_DEP_1) | instskip(NEXT) | instid1(VALU_DEP_1)
	v_add_nc_u32_e32 v8, v8, v23
	v_mov_b32_dpp v23, v8 row_shr:4 row_mask:0xf bank_mask:0xf
	s_delay_alu instid0(VALU_DEP_1) | instskip(NEXT) | instid1(VALU_DEP_1)
	v_cndmask_b32_e64 v23, 0, v23, s1
	v_add_nc_u32_e32 v8, v8, v23
	s_delay_alu instid0(VALU_DEP_1) | instskip(NEXT) | instid1(VALU_DEP_1)
	v_mov_b32_dpp v23, v8 row_shr:8 row_mask:0xf bank_mask:0xf
	v_cndmask_b32_e64 v23, 0, v23, s2
	s_delay_alu instid0(VALU_DEP_1)
	v_add_nc_u32_e32 v8, v8, v23
	ds_store_b32 v13, v8 offset:14848
.LBB38_32:
	s_or_b32 exec_lo, exec_lo, s3
	v_lshrrev_b16 v8, 8, v16
	v_mov_b32_e32 v13, 0
	v_mov_b32_e32 v23, 0
	s_waitcnt lgkmcnt(0)
	s_barrier
	buffer_gl0_inv
	s_and_saveexec_b32 s0, s4
	s_cbranch_execz .LBB38_34
; %bb.33:
	ds_load_b32 v23, v14 offset:14844
.LBB38_34:
	s_or_b32 exec_lo, exec_lo, s0
	s_waitcnt lgkmcnt(0)
	v_add_nc_u32_e32 v14, v23, v22
	ds_load_b32 v13, v13 offset:14904
	ds_bpermute_b32 v14, v15, v14
	s_waitcnt lgkmcnt(0)
	v_cndmask_b32_e64 v14, v14, v23, s8
	s_delay_alu instid0(VALU_DEP_1) | instskip(NEXT) | instid1(VALU_DEP_1)
	v_lshl_add_u32 v13, v13, 16, v14
	v_add_nc_u32_e32 v14, v13, v9
	s_delay_alu instid0(VALU_DEP_1) | instskip(NEXT) | instid1(VALU_DEP_1)
	v_add_nc_u32_e32 v9, v14, v10
	v_add_nc_u32_e32 v10, v9, v11
	s_delay_alu instid0(VALU_DEP_1) | instskip(NEXT) | instid1(VALU_DEP_1)
	v_add_nc_u32_e32 v11, v10, v12
	;; [unrolled: 3-line block ×3, first 2 shown]
	v_add_nc_u32_e32 v6, v5, v7
	v_and_b32_e32 v7, 0xffff, v19
	ds_store_2addr_b64 v17, v[13:14], v[9:10] offset1:1
	ds_store_2addr_b64 v17, v[11:12], v[5:6] offset0:2 offset1:3
	s_waitcnt lgkmcnt(0)
	s_barrier
	buffer_gl0_inv
	ds_load_u16 v5, v18
	ds_load_u16 v6, v20
	v_and_b32_e32 v9, 0xffff, v21
	s_waitcnt lgkmcnt(0)
	s_barrier
	buffer_gl0_inv
	v_add_nc_u32_e32 v7, v5, v7
	v_add_nc_u32_e32 v6, v6, v9
	ds_store_b8 v7, v16
	ds_store_b8 v6, v8
	s_waitcnt lgkmcnt(0)
	s_barrier
	buffer_gl0_inv
	ds_load_u8 v5, v0 offset:464
	ds_load_u8 v8, v0
	v_mad_u32_u24 v7, v7, 7, v7
	s_waitcnt lgkmcnt(0)
	s_barrier
	buffer_gl0_inv
	v_lshlrev_b16 v9, 8, v5
	v_add_nc_u32_e32 v5, 0x1d0, v0
	s_delay_alu instid0(VALU_DEP_2)
	v_or_b32_e32 v8, v8, v9
	v_mad_u32_u24 v9, v6, 7, v6
	ds_store_b64 v7, v[1:2]
	ds_store_b64 v9, v[3:4]
	v_and_b32_e32 v6, 0xffff, v8
	s_waitcnt lgkmcnt(0)
	s_barrier
.LBB38_35:
	v_lshlrev_b32_e32 v7, 3, v0
	s_waitcnt vmcnt(0)
	v_lshlrev_b32_e32 v3, 3, v5
	buffer_gl0_inv
	v_lshrrev_b16 v5, 8, v6
	v_xor_b32_e32 v6, 0x7f, v6
	ds_load_b64 v[1:2], v7
	ds_load_b64 v[3:4], v3
	v_xor_b32_e32 v5, 0x7f, v5
	s_clause 0x1
	global_store_b8 v0, v6, s[12:13]
	global_store_b8 v0, v5, s[12:13] offset:464
	s_waitcnt lgkmcnt(1)
	global_store_b64 v7, v[1:2], s[14:15]
	s_waitcnt lgkmcnt(0)
	global_store_b64 v7, v[3:4], s[14:15] offset:3712
	s_nop 0
	s_sendmsg sendmsg(MSG_DEALLOC_VGPRS)
	s_endpgm
	.section	.rodata,"a",@progbits
	.p2align	6, 0x0
	.amdhsa_kernel _Z21sort_key_value_kernelILj464ELj2ELb1ELb1EcdEvPT3_PT4_jj
		.amdhsa_group_segment_fixed_size 14912
		.amdhsa_private_segment_fixed_size 0
		.amdhsa_kernarg_size 24
		.amdhsa_user_sgpr_count 15
		.amdhsa_user_sgpr_dispatch_ptr 0
		.amdhsa_user_sgpr_queue_ptr 0
		.amdhsa_user_sgpr_kernarg_segment_ptr 1
		.amdhsa_user_sgpr_dispatch_id 0
		.amdhsa_user_sgpr_private_segment_size 0
		.amdhsa_wavefront_size32 1
		.amdhsa_uses_dynamic_stack 0
		.amdhsa_enable_private_segment 0
		.amdhsa_system_sgpr_workgroup_id_x 1
		.amdhsa_system_sgpr_workgroup_id_y 0
		.amdhsa_system_sgpr_workgroup_id_z 0
		.amdhsa_system_sgpr_workgroup_info 0
		.amdhsa_system_vgpr_workitem_id 0
		.amdhsa_next_free_vgpr 40
		.amdhsa_next_free_sgpr 19
		.amdhsa_reserve_vcc 1
		.amdhsa_float_round_mode_32 0
		.amdhsa_float_round_mode_16_64 0
		.amdhsa_float_denorm_mode_32 3
		.amdhsa_float_denorm_mode_16_64 3
		.amdhsa_dx10_clamp 1
		.amdhsa_ieee_mode 1
		.amdhsa_fp16_overflow 0
		.amdhsa_workgroup_processor_mode 1
		.amdhsa_memory_ordered 1
		.amdhsa_forward_progress 0
		.amdhsa_shared_vgpr_count 0
		.amdhsa_exception_fp_ieee_invalid_op 0
		.amdhsa_exception_fp_denorm_src 0
		.amdhsa_exception_fp_ieee_div_zero 0
		.amdhsa_exception_fp_ieee_overflow 0
		.amdhsa_exception_fp_ieee_underflow 0
		.amdhsa_exception_fp_ieee_inexact 0
		.amdhsa_exception_int_div_zero 0
	.end_amdhsa_kernel
	.section	.text._Z21sort_key_value_kernelILj464ELj2ELb1ELb1EcdEvPT3_PT4_jj,"axG",@progbits,_Z21sort_key_value_kernelILj464ELj2ELb1ELb1EcdEvPT3_PT4_jj,comdat
.Lfunc_end38:
	.size	_Z21sort_key_value_kernelILj464ELj2ELb1ELb1EcdEvPT3_PT4_jj, .Lfunc_end38-_Z21sort_key_value_kernelILj464ELj2ELb1ELb1EcdEvPT3_PT4_jj
                                        ; -- End function
	.section	.AMDGPU.csdata,"",@progbits
; Kernel info:
; codeLenInByte = 3924
; NumSgprs: 21
; NumVgprs: 40
; ScratchSize: 0
; MemoryBound: 0
; FloatMode: 240
; IeeeMode: 1
; LDSByteSize: 14912 bytes/workgroup (compile time only)
; SGPRBlocks: 2
; VGPRBlocks: 4
; NumSGPRsForWavesPerEU: 21
; NumVGPRsForWavesPerEU: 40
; Occupancy: 15
; WaveLimiterHint : 1
; COMPUTE_PGM_RSRC2:SCRATCH_EN: 0
; COMPUTE_PGM_RSRC2:USER_SGPR: 15
; COMPUTE_PGM_RSRC2:TRAP_HANDLER: 0
; COMPUTE_PGM_RSRC2:TGID_X_EN: 1
; COMPUTE_PGM_RSRC2:TGID_Y_EN: 0
; COMPUTE_PGM_RSRC2:TGID_Z_EN: 0
; COMPUTE_PGM_RSRC2:TIDIG_COMP_CNT: 0
	.section	.text._Z21sort_key_value_kernelILj33ELj5ELb0ELb0EdiEvPT3_PT4_jj,"axG",@progbits,_Z21sort_key_value_kernelILj33ELj5ELb0ELb0EdiEvPT3_PT4_jj,comdat
	.protected	_Z21sort_key_value_kernelILj33ELj5ELb0ELb0EdiEvPT3_PT4_jj ; -- Begin function _Z21sort_key_value_kernelILj33ELj5ELb0ELb0EdiEvPT3_PT4_jj
	.globl	_Z21sort_key_value_kernelILj33ELj5ELb0ELb0EdiEvPT3_PT4_jj
	.p2align	8
	.type	_Z21sort_key_value_kernelILj33ELj5ELb0ELb0EdiEvPT3_PT4_jj,@function
_Z21sort_key_value_kernelILj33ELj5ELb0ELb0EdiEvPT3_PT4_jj: ; @_Z21sort_key_value_kernelILj33ELj5ELb0ELb0EdiEvPT3_PT4_jj
; %bb.0:
	s_clause 0x1
	s_load_b128 s[4:7], s[0:1], 0x0
	s_load_b64 s[22:23], s[0:1], 0x10
	v_mul_u32_u24_e32 v11, 5, v0
	s_mov_b32 s3, 0
	s_mul_i32 s2, s15, 0xa5
	v_cmp_gt_u32_e32 vcc_lo, 32, v0
	s_lshl_b64 s[8:9], s[2:3], 3
	v_lshlrev_b32_e32 v46, 3, v11
	v_lshlrev_b32_e32 v47, 2, v11
	v_mbcnt_lo_u32_b32 v11, -1, 0
	v_cndmask_b32_e64 v14, 32, 31, vcc_lo
	v_lshrrev_b32_e32 v16, 3, v0
	v_cmp_gt_u32_e64 s11, 0xe7, v0
	v_cmp_gt_u32_e64 s12, 0xc6, v0
	v_add_nc_u32_e32 v15, -1, v11
	v_and_b32_e32 v12, 15, v11
	v_and_b32_e32 v13, 16, v11
	;; [unrolled: 1-line block ×4, first 2 shown]
	v_cmp_gt_i32_e32 vcc_lo, 0, v15
	s_waitcnt lgkmcnt(0)
	s_add_u32 s18, s4, s8
	s_addc_u32 s19, s5, s9
	s_lshl_b64 s[0:1], s[2:3], 2
	s_clause 0x2
	global_load_b128 v[1:4], v46, s[18:19]
	global_load_b128 v[5:8], v46, s[18:19] offset:16
	global_load_b64 v[9:10], v46, s[18:19] offset:32
	s_add_u32 s20, s6, s0
	s_addc_u32 s21, s7, s1
	s_clause 0x1
	global_load_b32 v45, v47, s[20:21] offset:16
	global_load_b128 v[17:20], v47, s[20:21]
	s_cmp_eq_u32 s22, 0
	v_lshlrev_b32_e32 v40, 5, v0
	s_cselect_b32 s17, -1, 0
	s_cmp_eq_u32 s23, 64
	v_cmp_eq_u32_e64 s3, 0, v11
	v_cndmask_b32_e32 v11, v15, v11, vcc_lo
	s_cselect_b32 s24, -1, 0
	v_cmp_eq_u32_e64 s8, 0, v13
	s_and_b32 s17, s17, s24
	v_mad_i32_i24 v42, 0xffffffe4, v0, v40
	s_and_b32 vcc_lo, exec_lo, s17
	v_lshlrev_b32_e32 v44, 2, v11
	v_cmp_eq_u32_e64 s4, 0, v12
	v_cmp_lt_u32_e64 s5, 1, v12
	v_cmp_lt_u32_e64 s6, 3, v12
	;; [unrolled: 1-line block ×3, first 2 shown]
	v_cmp_eq_u32_e64 s9, v14, v0
	v_mad_u32_u24 v41, v0, 36, v42
	v_cmp_gt_u32_e64 s0, 0x108, v0
	v_cmp_lt_u32_e64 s1, 31, v0
	v_cmp_gt_u32_e64 s2, 2, v0
	v_cmp_gt_u32_e64 s13, 0xa5, v0
	;; [unrolled: 1-line block ×5, first 2 shown]
	v_cmp_eq_u32_e64 s10, 0, v21
	v_mad_i32_i24 v39, 0xffffffec, v0, v41
	s_mov_b32 s24, -1
	s_waitcnt vmcnt(4)
	v_cmp_lt_i64_e64 s17, -1, v[1:2]
	v_ashrrev_i32_e32 v12, 31, v2
	v_ashrrev_i32_e32 v14, 31, v4
	s_waitcnt vmcnt(3)
	v_ashrrev_i32_e32 v16, 31, v6
	v_ashrrev_i32_e32 v29, 31, v8
	s_waitcnt vmcnt(2)
	v_ashrrev_i32_e32 v31, 31, v10
	v_cndmask_b32_e64 v11, -1, 0x80000000, s17
	v_cmp_lt_i64_e64 s17, -1, v[3:4]
	v_xor_b32_e32 v21, v12, v1
	v_xor_b32_e32 v23, v14, v3
	;; [unrolled: 1-line block ×4, first 2 shown]
	v_cndmask_b32_e64 v13, -1, 0x80000000, s17
	v_cmp_lt_i64_e64 s17, -1, v[5:6]
	s_delay_alu instid0(VALU_DEP_2) | instskip(NEXT) | instid1(VALU_DEP_2)
	v_xor_b32_e32 v24, v13, v4
	v_cndmask_b32_e64 v15, -1, 0x80000000, s17
	v_cmp_lt_i64_e64 s17, -1, v[7:8]
	s_delay_alu instid0(VALU_DEP_2) | instskip(NEXT) | instid1(VALU_DEP_2)
	v_xor_b32_e32 v26, v15, v6
	v_cndmask_b32_e64 v27, -1, 0x80000000, s17
	v_cmp_lt_i64_e64 s17, -1, v[9:10]
	s_delay_alu instid0(VALU_DEP_2) | instskip(SKIP_1) | instid1(VALU_DEP_3)
	v_xor_b32_e32 v28, v27, v8
	v_xor_b32_e32 v27, v29, v7
	v_cndmask_b32_e64 v30, -1, 0x80000000, s17
	v_xor_b32_e32 v29, v31, v9
	v_cmp_gt_u32_e64 s17, 33, v0
	s_delay_alu instid0(VALU_DEP_3)
	v_xor_b32_e32 v30, v30, v10
	s_cbranch_vccnz .LBB39_21
; %bb.1:
	v_mov_b32_e32 v1, v21
	v_mov_b32_e32 v3, v23
	;; [unrolled: 1-line block ×3, first 2 shown]
	v_dual_mov_b32 v7, v27 :: v_dual_mov_b32 v34, v30
	v_dual_mov_b32 v54, 0 :: v_dual_lshlrev_b32 v53, 2, v0
	s_waitcnt vmcnt(0)
	v_dual_mov_b32 v35, v17 :: v_dual_mov_b32 v36, v18
	v_dual_mov_b32 v37, v19 :: v_dual_mov_b32 v38, v20
	v_dual_mov_b32 v65, v45 :: v_dual_mov_b32 v2, v22
	v_mov_b32_e32 v4, v24
	v_mov_b32_e32 v6, v26
	v_dual_mov_b32 v8, v28 :: v_dual_mov_b32 v33, v29
	s_mov_b32 s24, -1
	s_brev_b32 s25, -2
	s_sub_i32 s26, s23, s22
	s_branch .LBB39_3
.LBB39_2:                               ;   in Loop: Header=BB39_3 Depth=1
	v_lshlrev_b32_e32 v35, 2, v64
	v_lshlrev_b32_e32 v36, 2, v63
	;; [unrolled: 1-line block ×5, first 2 shown]
	v_sub_nc_u32_e32 v35, v57, v35
	v_sub_nc_u32_e32 v36, v58, v36
	;; [unrolled: 1-line block ×5, first 2 shown]
	s_barrier
	buffer_gl0_inv
	ds_store_b64 v57, v[31:32]
	ds_store_b64 v58, v[15:16]
	;; [unrolled: 1-line block ×5, first 2 shown]
	s_waitcnt lgkmcnt(0)
	s_barrier
	buffer_gl0_inv
	ds_load_2addr_b64 v[1:4], v41 offset1:1
	ds_load_2addr_b64 v[5:8], v41 offset0:2 offset1:3
	ds_load_b64 v[33:34], v41 offset:32
	s_waitcnt lgkmcnt(0)
	s_barrier
	buffer_gl0_inv
	ds_store_b32 v35, v52
	ds_store_b32 v36, v51
	;; [unrolled: 1-line block ×5, first 2 shown]
	s_waitcnt lgkmcnt(0)
	s_barrier
	buffer_gl0_inv
	ds_load_2addr_b32 v[35:36], v39 offset1:1
	ds_load_2addr_b32 v[37:38], v39 offset0:2 offset1:3
	ds_load_b32 v65, v39 offset:16
	s_add_i32 s26, s26, -4
	s_waitcnt lgkmcnt(0)
	s_barrier
	buffer_gl0_inv
	s_cbranch_execz .LBB39_20
.LBB39_3:                               ; =>This Inner Loop Header: Depth=1
	v_dual_mov_b32 v9, v33 :: v_dual_mov_b32 v10, v34
	v_dual_mov_b32 v12, v8 :: v_dual_mov_b32 v11, v7
	;; [unrolled: 1-line block ×7, first 2 shown]
	v_mov_b32_e32 v52, v35
	s_and_saveexec_b32 s27, s0
	s_cbranch_execz .LBB39_12
; %bb.4:                                ;   in Loop: Header=BB39_3 Depth=1
	ds_store_b32 v53, v54
	s_and_b32 exec_lo, exec_lo, s11
	s_cbranch_execz .LBB39_12
; %bb.5:                                ;   in Loop: Header=BB39_3 Depth=1
	ds_store_b32 v53, v54 offset:132
	s_and_b32 exec_lo, exec_lo, s12
	s_cbranch_execz .LBB39_12
; %bb.6:                                ;   in Loop: Header=BB39_3 Depth=1
	ds_store_b32 v53, v54 offset:264
	;; [unrolled: 4-line block ×5, first 2 shown]
	s_and_b32 exec_lo, exec_lo, s16
	s_cbranch_execz .LBB39_12
; %bb.10:                               ;   in Loop: Header=BB39_3 Depth=1
	ds_store_b32 v53, v54 offset:792
	s_and_b32 exec_lo, exec_lo, s17
	s_cbranch_execz .LBB39_12
; %bb.11:                               ;   in Loop: Header=BB39_3 Depth=1
	ds_store_b32 v53, v54 offset:924
.LBB39_12:                              ;   in Loop: Header=BB39_3 Depth=1
	s_or_b32 exec_lo, exec_lo, s27
	v_cmp_ne_u64_e32 vcc_lo, s[24:25], v[31:32]
	s_min_u32 s27, s26, 4
	s_delay_alu instid0(SALU_CYCLE_1) | instskip(NEXT) | instid1(SALU_CYCLE_1)
	s_lshl_b32 s27, -1, s27
	s_not_b32 s27, s27
	v_cndmask_b32_e32 v2, 0x80000000, v32, vcc_lo
	v_cndmask_b32_e32 v1, 0, v31, vcc_lo
	v_cmp_ne_u64_e32 vcc_lo, s[24:25], v[15:16]
	s_delay_alu instid0(VALU_DEP_2) | instskip(SKIP_1) | instid1(VALU_DEP_2)
	v_lshrrev_b64 v[1:2], s22, v[1:2]
	v_cndmask_b32_e32 v2, 0x80000000, v16, vcc_lo
	v_and_b32_e32 v3, s27, v1
	s_delay_alu instid0(VALU_DEP_1) | instskip(SKIP_1) | instid1(VALU_DEP_2)
	v_and_b32_e32 v1, 7, v3
	v_lshrrev_b32_e32 v3, 3, v3
	v_mul_u32_u24_e32 v4, 33, v1
	v_cndmask_b32_e32 v1, 0, v15, vcc_lo
	v_cmp_ne_u64_e32 vcc_lo, s[24:25], v[13:14]
	s_delay_alu instid0(VALU_DEP_3) | instskip(NEXT) | instid1(VALU_DEP_3)
	v_add_lshl_u32 v4, v4, v0, 1
	v_lshrrev_b64 v[1:2], s22, v[1:2]
	v_cndmask_b32_e32 v2, 0x80000000, v14, vcc_lo
	s_delay_alu instid0(VALU_DEP_3) | instskip(NEXT) | instid1(VALU_DEP_3)
	v_add_lshl_u32 v34, v4, v3, 1
	v_and_b32_e32 v3, s27, v1
	ds_load_u16 v33, v34
	v_and_b32_e32 v1, 7, v3
	v_lshrrev_b32_e32 v3, 3, v3
	s_delay_alu instid0(VALU_DEP_2) | instskip(SKIP_2) | instid1(VALU_DEP_3)
	v_mul_u32_u24_e32 v4, 33, v1
	v_cndmask_b32_e32 v1, 0, v13, vcc_lo
	v_cmp_ne_u64_e32 vcc_lo, s[24:25], v[11:12]
	v_add_lshl_u32 v4, v4, v0, 1
	s_delay_alu instid0(VALU_DEP_3) | instskip(NEXT) | instid1(VALU_DEP_2)
	v_lshrrev_b64 v[1:2], s22, v[1:2]
	v_add_lshl_u32 v36, v4, v3, 1
	s_delay_alu instid0(VALU_DEP_2) | instskip(SKIP_2) | instid1(VALU_DEP_2)
	v_and_b32_e32 v3, s27, v1
	s_waitcnt lgkmcnt(0)
	v_add_nc_u16 v2, v33, 1
	v_and_b32_e32 v1, 7, v3
	ds_store_b16 v34, v2
	ds_load_u16 v35, v36
	v_cndmask_b32_e32 v2, 0x80000000, v12, vcc_lo
	v_lshrrev_b32_e32 v3, 3, v3
	v_mul_u32_u24_e32 v4, 33, v1
	v_cndmask_b32_e32 v1, 0, v11, vcc_lo
	v_cmp_ne_u64_e32 vcc_lo, s[24:25], v[9:10]
	s_delay_alu instid0(VALU_DEP_3) | instskip(NEXT) | instid1(VALU_DEP_3)
	v_add_lshl_u32 v4, v4, v0, 1
	v_lshrrev_b64 v[1:2], s22, v[1:2]
	s_delay_alu instid0(VALU_DEP_2) | instskip(NEXT) | instid1(VALU_DEP_2)
	v_add_lshl_u32 v38, v4, v3, 1
	v_and_b32_e32 v3, s27, v1
	s_delay_alu instid0(VALU_DEP_1) | instskip(SKIP_3) | instid1(VALU_DEP_3)
	v_and_b32_e32 v1, 7, v3
	s_waitcnt lgkmcnt(0)
	v_add_nc_u16 v2, v35, 1
	v_lshrrev_b32_e32 v3, 3, v3
	v_mul_u32_u24_e32 v4, 33, v1
	ds_store_b16 v36, v2
	ds_load_u16 v37, v38
	v_cndmask_b32_e32 v2, 0x80000000, v10, vcc_lo
	v_cndmask_b32_e32 v1, 0, v9, vcc_lo
	v_add_lshl_u32 v4, v4, v0, 1
	s_delay_alu instid0(VALU_DEP_2) | instskip(NEXT) | instid1(VALU_DEP_2)
	v_lshrrev_b64 v[1:2], s22, v[1:2]
	v_add_lshl_u32 v56, v4, v3, 1
	s_delay_alu instid0(VALU_DEP_2)
	v_and_b32_e32 v1, s27, v1
	s_waitcnt lgkmcnt(0)
	v_add_nc_u16 v2, v37, 1
	ds_store_b16 v38, v2
	ds_load_u16 v55, v56
	v_and_b32_e32 v2, 7, v1
	v_lshrrev_b32_e32 v1, 3, v1
	s_delay_alu instid0(VALU_DEP_2) | instskip(NEXT) | instid1(VALU_DEP_1)
	v_mul_u32_u24_e32 v2, 33, v2
	v_add_lshl_u32 v2, v2, v0, 1
	s_delay_alu instid0(VALU_DEP_1)
	v_add_lshl_u32 v58, v2, v1, 1
	s_waitcnt lgkmcnt(0)
	v_add_nc_u16 v3, v55, 1
	ds_store_b16 v56, v3
	ds_load_u16 v57, v58
	s_waitcnt lgkmcnt(0)
	v_add_nc_u16 v1, v57, 1
	ds_store_b16 v58, v1
	s_waitcnt lgkmcnt(0)
	s_barrier
	buffer_gl0_inv
	ds_load_2addr_b64 v[5:8], v40 offset1:1
	ds_load_2addr_b64 v[1:4], v40 offset0:2 offset1:3
	s_waitcnt lgkmcnt(1)
	v_add_nc_u32_e32 v59, v6, v5
	s_delay_alu instid0(VALU_DEP_1) | instskip(SKIP_1) | instid1(VALU_DEP_1)
	v_add3_u32 v59, v59, v7, v8
	s_waitcnt lgkmcnt(0)
	v_add3_u32 v59, v59, v1, v2
	s_delay_alu instid0(VALU_DEP_1) | instskip(NEXT) | instid1(VALU_DEP_1)
	v_add3_u32 v4, v59, v3, v4
	v_mov_b32_dpp v59, v4 row_shr:1 row_mask:0xf bank_mask:0xf
	s_delay_alu instid0(VALU_DEP_1) | instskip(NEXT) | instid1(VALU_DEP_1)
	v_cndmask_b32_e64 v59, v59, 0, s4
	v_add_nc_u32_e32 v4, v59, v4
	s_delay_alu instid0(VALU_DEP_1) | instskip(NEXT) | instid1(VALU_DEP_1)
	v_mov_b32_dpp v59, v4 row_shr:2 row_mask:0xf bank_mask:0xf
	v_cndmask_b32_e64 v59, 0, v59, s5
	s_delay_alu instid0(VALU_DEP_1) | instskip(NEXT) | instid1(VALU_DEP_1)
	v_add_nc_u32_e32 v4, v4, v59
	v_mov_b32_dpp v59, v4 row_shr:4 row_mask:0xf bank_mask:0xf
	s_delay_alu instid0(VALU_DEP_1) | instskip(NEXT) | instid1(VALU_DEP_1)
	v_cndmask_b32_e64 v59, 0, v59, s6
	v_add_nc_u32_e32 v4, v4, v59
	s_delay_alu instid0(VALU_DEP_1) | instskip(NEXT) | instid1(VALU_DEP_1)
	v_mov_b32_dpp v59, v4 row_shr:8 row_mask:0xf bank_mask:0xf
	v_cndmask_b32_e64 v59, 0, v59, s7
	s_delay_alu instid0(VALU_DEP_1) | instskip(SKIP_3) | instid1(VALU_DEP_1)
	v_add_nc_u32_e32 v4, v4, v59
	ds_swizzle_b32 v59, v4 offset:swizzle(BROADCAST,32,15)
	s_waitcnt lgkmcnt(0)
	v_cndmask_b32_e64 v59, v59, 0, s8
	v_add_nc_u32_e32 v4, v4, v59
	s_and_saveexec_b32 s27, s9
	s_cbranch_execz .LBB39_14
; %bb.13:                               ;   in Loop: Header=BB39_3 Depth=1
	ds_store_b32 v43, v4 offset:1056
.LBB39_14:                              ;   in Loop: Header=BB39_3 Depth=1
	s_or_b32 exec_lo, exec_lo, s27
	s_waitcnt lgkmcnt(0)
	s_barrier
	buffer_gl0_inv
	s_and_saveexec_b32 s27, s2
	s_cbranch_execz .LBB39_16
; %bb.15:                               ;   in Loop: Header=BB39_3 Depth=1
	ds_load_b32 v59, v42 offset:1056
	s_waitcnt lgkmcnt(0)
	v_mov_b32_dpp v60, v59 row_shr:1 row_mask:0xf bank_mask:0xf
	s_delay_alu instid0(VALU_DEP_1) | instskip(NEXT) | instid1(VALU_DEP_1)
	v_cndmask_b32_e64 v60, v60, 0, s10
	v_add_nc_u32_e32 v59, v60, v59
	ds_store_b32 v42, v59 offset:1056
.LBB39_16:                              ;   in Loop: Header=BB39_3 Depth=1
	s_or_b32 exec_lo, exec_lo, s27
	v_mov_b32_e32 v59, 0
	s_waitcnt lgkmcnt(0)
	s_barrier
	buffer_gl0_inv
	s_and_saveexec_b32 s27, s1
	s_cbranch_execz .LBB39_18
; %bb.17:                               ;   in Loop: Header=BB39_3 Depth=1
	ds_load_b32 v59, v43 offset:1052
.LBB39_18:                              ;   in Loop: Header=BB39_3 Depth=1
	s_or_b32 exec_lo, exec_lo, s27
	s_waitcnt lgkmcnt(0)
	v_add_nc_u32_e32 v4, v59, v4
	ds_load_b32 v60, v54 offset:1060
	s_add_i32 s22, s22, 4
	s_delay_alu instid0(SALU_CYCLE_1) | instskip(SKIP_3) | instid1(VALU_DEP_1)
	s_cmp_ge_u32 s22, s23
	ds_bpermute_b32 v4, v44, v4
	s_waitcnt lgkmcnt(0)
	v_cndmask_b32_e64 v4, v4, v59, s3
	v_lshl_add_u32 v4, v60, 16, v4
	s_delay_alu instid0(VALU_DEP_1) | instskip(NEXT) | instid1(VALU_DEP_1)
	v_add_nc_u32_e32 v5, v4, v5
	v_add_nc_u32_e32 v6, v5, v6
	s_delay_alu instid0(VALU_DEP_1) | instskip(NEXT) | instid1(VALU_DEP_1)
	v_add_nc_u32_e32 v7, v6, v7
	v_add_nc_u32_e32 v59, v7, v8
	v_and_b32_e32 v8, 0xffff, v37
	s_delay_alu instid0(VALU_DEP_2) | instskip(NEXT) | instid1(VALU_DEP_1)
	v_add_nc_u32_e32 v60, v59, v1
	v_add_nc_u32_e32 v1, v60, v2
	s_delay_alu instid0(VALU_DEP_1)
	v_add_nc_u32_e32 v2, v1, v3
	ds_store_2addr_b64 v40, v[4:5], v[6:7] offset1:1
	ds_store_2addr_b64 v40, v[59:60], v[1:2] offset0:2 offset1:3
	s_waitcnt lgkmcnt(0)
	s_barrier
	buffer_gl0_inv
	ds_load_u16 v1, v34
	ds_load_u16 v2, v36
	;; [unrolled: 1-line block ×5, first 2 shown]
	v_and_b32_e32 v6, 0xffff, v33
	v_and_b32_e32 v7, 0xffff, v35
	;; [unrolled: 1-line block ×4, first 2 shown]
	s_waitcnt lgkmcnt(0)
	v_add_nc_u32_e32 v64, v1, v6
	v_add_nc_u32_e32 v63, v2, v7
	;; [unrolled: 1-line block ×5, first 2 shown]
	v_lshlrev_b32_e32 v57, 3, v64
	v_lshlrev_b32_e32 v58, 3, v63
	;; [unrolled: 1-line block ×5, first 2 shown]
	s_cbranch_scc0 .LBB39_2
; %bb.19:
                                        ; implicit-def: $vgpr33_vgpr34
                                        ; implicit-def: $vgpr7_vgpr8
                                        ; implicit-def: $vgpr3_vgpr4
                                        ; implicit-def: $vgpr65
                                        ; implicit-def: $vgpr38
                                        ; implicit-def: $vgpr36
                                        ; implicit-def: $sgpr26
.LBB39_20:
	s_barrier
	buffer_gl0_inv
	ds_store_b64 v57, v[31:32]
	ds_store_b64 v58, v[15:16]
	ds_store_b64 v59, v[13:14]
	ds_store_b64 v60, v[11:12]
	ds_store_b64 v61, v[9:10]
	s_waitcnt lgkmcnt(0)
	s_barrier
	buffer_gl0_inv
	ds_load_2addr_b64 v[1:4], v41 offset1:1
	ds_load_2addr_b64 v[5:8], v41 offset0:2 offset1:3
	ds_load_b64 v[9:10], v41 offset:32
	v_lshlrev_b32_e32 v11, 2, v64
	v_lshlrev_b32_e32 v12, 2, v63
	;; [unrolled: 1-line block ×5, first 2 shown]
	v_sub_nc_u32_e32 v11, v57, v11
	v_sub_nc_u32_e32 v12, v58, v12
	;; [unrolled: 1-line block ×5, first 2 shown]
	s_waitcnt lgkmcnt(0)
	s_barrier
	buffer_gl0_inv
	ds_store_b32 v11, v52
	ds_store_b32 v12, v51
	;; [unrolled: 1-line block ×5, first 2 shown]
	s_waitcnt lgkmcnt(0)
	s_mov_b32 s24, 0
	s_barrier
	s_branch .LBB39_22
.LBB39_21:
                                        ; implicit-def: $vgpr1_vgpr2_vgpr3_vgpr4_vgpr5_vgpr6_vgpr7_vgpr8_vgpr9_vgpr10_vgpr11_vgpr12_vgpr13_vgpr14_vgpr15_vgpr16
.LBB39_22:
	v_add_co_u32 v13, s11, s18, v46
	s_delay_alu instid0(VALU_DEP_1) | instskip(SKIP_1) | instid1(VALU_DEP_1)
	v_add_co_ci_u32_e64 v14, null, s19, 0, s11
	v_add_co_u32 v11, s11, s20, v47
	v_add_co_ci_u32_e64 v12, null, s21, 0, s11
	s_and_b32 vcc_lo, exec_lo, s24
	s_cbranch_vccz .LBB39_43
; %bb.23:
	v_dual_mov_b32 v50, 0 :: v_dual_lshlrev_b32 v1, 4, v0
	v_cmp_gt_u32_e64 s11, 0xe7, v0
	v_cmp_gt_u32_e64 s12, 0xc6, v0
	;; [unrolled: 1-line block ×3, first 2 shown]
	s_delay_alu instid0(VALU_DEP_4)
	v_sub_nc_u32_e32 v1, 0, v1
	v_cmp_gt_u32_e64 s14, 0x84, v0
	v_cmp_gt_u32_e64 s15, 0x63, v0
	;; [unrolled: 1-line block ×4, first 2 shown]
	v_add_nc_u32_e32 v49, v39, v1
	s_mov_b32 s18, -1
	s_brev_b32 s19, -2
	s_mov_b64 s[20:21], 0
	s_branch .LBB39_25
.LBB39_24:                              ;   in Loop: Header=BB39_25 Depth=1
	v_lshlrev_b32_e32 v1, 3, v55
	v_lshlrev_b32_e32 v6, 2, v55
	;; [unrolled: 1-line block ×10, first 2 shown]
	s_barrier
	buffer_gl0_inv
	ds_store_b64 v1, v[35:36]
	ds_store_b64 v2, v[33:34]
	;; [unrolled: 1-line block ×5, first 2 shown]
	v_sub_nc_u32_e32 v1, v1, v6
	v_sub_nc_u32_e32 v2, v2, v7
	;; [unrolled: 1-line block ×5, first 2 shown]
	s_waitcnt lgkmcnt(0)
	s_barrier
	buffer_gl0_inv
	ds_load_2addr_b64 v[21:24], v41 offset1:1
	ds_load_2addr_b64 v[25:28], v41 offset0:2 offset1:3
	ds_load_b64 v[29:30], v41 offset:32
	s_waitcnt lgkmcnt(0)
	s_barrier
	buffer_gl0_inv
	ds_store_b32 v1, v48
	ds_store_b32 v2, v47
	;; [unrolled: 1-line block ×5, first 2 shown]
	s_waitcnt lgkmcnt(0)
	s_barrier
	buffer_gl0_inv
	ds_load_2addr_b32 v[17:18], v39 offset1:1
	ds_load_2addr_b32 v[19:20], v39 offset0:2 offset1:3
	ds_load_b32 v45, v39 offset:16
	s_add_u32 s20, s20, 4
	s_addc_u32 s21, s21, 0
	s_waitcnt lgkmcnt(0)
	s_barrier
	buffer_gl0_inv
	s_cbranch_execz .LBB39_42
.LBB39_25:                              ; =>This Inner Loop Header: Depth=1
	v_dual_mov_b32 v9, v29 :: v_dual_mov_b32 v10, v30
	v_dual_mov_b32 v15, v27 :: v_dual_mov_b32 v16, v28
	;; [unrolled: 1-line block ×5, first 2 shown]
	s_waitcnt vmcnt(0)
	v_dual_mov_b32 v37, v45 :: v_dual_mov_b32 v38, v20
	v_dual_mov_b32 v46, v19 :: v_dual_mov_b32 v47, v18
	v_mov_b32_e32 v48, v17
	s_and_saveexec_b32 s22, s0
	s_cbranch_execz .LBB39_34
; %bb.26:                               ;   in Loop: Header=BB39_25 Depth=1
	ds_store_b32 v49, v50
	s_and_b32 exec_lo, exec_lo, s11
	s_cbranch_execz .LBB39_34
; %bb.27:                               ;   in Loop: Header=BB39_25 Depth=1
	ds_store_b32 v49, v50 offset:132
	s_and_b32 exec_lo, exec_lo, s12
	s_cbranch_execz .LBB39_34
; %bb.28:                               ;   in Loop: Header=BB39_25 Depth=1
	ds_store_b32 v49, v50 offset:264
	s_and_b32 exec_lo, exec_lo, s13
	s_cbranch_execz .LBB39_34
; %bb.29:                               ;   in Loop: Header=BB39_25 Depth=1
	ds_store_b32 v49, v50 offset:396
	s_and_b32 exec_lo, exec_lo, s14
	s_cbranch_execz .LBB39_34
; %bb.30:                               ;   in Loop: Header=BB39_25 Depth=1
	ds_store_b32 v49, v50 offset:528
	s_and_b32 exec_lo, exec_lo, s15
	s_cbranch_execz .LBB39_34
; %bb.31:                               ;   in Loop: Header=BB39_25 Depth=1
	ds_store_b32 v49, v50 offset:660
	s_and_b32 exec_lo, exec_lo, s16
	s_cbranch_execz .LBB39_34
; %bb.32:                               ;   in Loop: Header=BB39_25 Depth=1
	ds_store_b32 v49, v50 offset:792
	s_and_b32 exec_lo, exec_lo, s17
	s_cbranch_execz .LBB39_34
; %bb.33:                               ;   in Loop: Header=BB39_25 Depth=1
	ds_store_b32 v49, v50 offset:924
.LBB39_34:                              ;   in Loop: Header=BB39_25 Depth=1
	s_or_b32 exec_lo, exec_lo, s22
	v_cmp_ne_u64_e32 vcc_lo, s[18:19], v[35:36]
	v_cndmask_b32_e32 v2, 0x80000000, v36, vcc_lo
	v_cndmask_b32_e32 v1, 0, v35, vcc_lo
	v_cmp_ne_u64_e32 vcc_lo, s[18:19], v[33:34]
	s_delay_alu instid0(VALU_DEP_2) | instskip(NEXT) | instid1(VALU_DEP_1)
	v_lshrrev_b64 v[1:2], s20, v[1:2]
	v_and_b32_e32 v2, 7, v1
	v_lshrrev_b32_e32 v1, 2, v1
	s_delay_alu instid0(VALU_DEP_2) | instskip(NEXT) | instid1(VALU_DEP_2)
	v_mad_u32_u24 v2, v2, 33, v0
	v_and_b32_e32 v1, 2, v1
	s_delay_alu instid0(VALU_DEP_1)
	v_lshl_or_b32 v18, v2, 2, v1
	v_cndmask_b32_e32 v2, 0x80000000, v34, vcc_lo
	v_cndmask_b32_e32 v1, 0, v33, vcc_lo
	v_cmp_ne_u64_e32 vcc_lo, s[18:19], v[31:32]
	ds_load_u16 v17, v18
	v_lshrrev_b64 v[1:2], s20, v[1:2]
	s_delay_alu instid0(VALU_DEP_1) | instskip(SKIP_1) | instid1(VALU_DEP_2)
	v_and_b32_e32 v2, 7, v1
	v_lshrrev_b32_e32 v1, 2, v1
	v_mad_u32_u24 v2, v2, 33, v0
	s_delay_alu instid0(VALU_DEP_2) | instskip(NEXT) | instid1(VALU_DEP_1)
	v_and_b32_e32 v1, 2, v1
	v_lshl_or_b32 v20, v2, 2, v1
	s_waitcnt lgkmcnt(0)
	v_add_nc_u16 v3, v17, 1
	v_cndmask_b32_e32 v2, 0x80000000, v32, vcc_lo
	v_cndmask_b32_e32 v1, 0, v31, vcc_lo
	v_cmp_ne_u64_e32 vcc_lo, s[18:19], v[15:16]
	ds_store_b16 v18, v3
	ds_load_u16 v19, v20
	v_lshrrev_b64 v[1:2], s20, v[1:2]
	s_delay_alu instid0(VALU_DEP_1) | instskip(SKIP_1) | instid1(VALU_DEP_2)
	v_and_b32_e32 v2, 7, v1
	v_lshrrev_b32_e32 v1, 2, v1
	v_mad_u32_u24 v2, v2, 33, v0
	s_delay_alu instid0(VALU_DEP_2) | instskip(NEXT) | instid1(VALU_DEP_1)
	v_and_b32_e32 v1, 2, v1
	v_lshl_or_b32 v22, v2, 2, v1
	v_cndmask_b32_e32 v2, 0x80000000, v16, vcc_lo
	s_waitcnt lgkmcnt(0)
	v_add_nc_u16 v3, v19, 1
	v_cndmask_b32_e32 v1, 0, v15, vcc_lo
	v_cmp_ne_u64_e32 vcc_lo, s[18:19], v[9:10]
	ds_store_b16 v20, v3
	ds_load_u16 v21, v22
	v_lshrrev_b64 v[1:2], s20, v[1:2]
	s_delay_alu instid0(VALU_DEP_1) | instskip(SKIP_1) | instid1(VALU_DEP_2)
	v_and_b32_e32 v2, 7, v1
	v_lshrrev_b32_e32 v1, 2, v1
	v_mad_u32_u24 v2, v2, 33, v0
	s_delay_alu instid0(VALU_DEP_2) | instskip(NEXT) | instid1(VALU_DEP_1)
	v_and_b32_e32 v1, 2, v1
	v_lshl_or_b32 v24, v2, 2, v1
	v_cndmask_b32_e32 v2, 0x80000000, v10, vcc_lo
	s_waitcnt lgkmcnt(0)
	v_add_nc_u16 v3, v21, 1
	v_cndmask_b32_e32 v1, 0, v9, vcc_lo
	ds_store_b16 v22, v3
	ds_load_u16 v23, v24
	v_lshrrev_b64 v[1:2], s20, v[1:2]
	s_delay_alu instid0(VALU_DEP_1) | instskip(SKIP_1) | instid1(VALU_DEP_2)
	v_and_b32_e32 v2, 7, v1
	v_lshrrev_b32_e32 v1, 2, v1
	v_mad_u32_u24 v2, v2, 33, v0
	s_delay_alu instid0(VALU_DEP_2) | instskip(NEXT) | instid1(VALU_DEP_1)
	v_and_b32_e32 v1, 2, v1
	v_lshl_or_b32 v26, v2, 2, v1
	s_waitcnt lgkmcnt(0)
	v_add_nc_u16 v3, v23, 1
	ds_store_b16 v24, v3
	ds_load_u16 v25, v26
	s_waitcnt lgkmcnt(0)
	v_add_nc_u16 v1, v25, 1
	ds_store_b16 v26, v1
	s_waitcnt lgkmcnt(0)
	s_barrier
	buffer_gl0_inv
	ds_load_2addr_b64 v[5:8], v40 offset1:1
	ds_load_2addr_b64 v[1:4], v40 offset0:2 offset1:3
	s_waitcnt lgkmcnt(1)
	v_add_nc_u32_e32 v27, v6, v5
	s_delay_alu instid0(VALU_DEP_1) | instskip(SKIP_1) | instid1(VALU_DEP_1)
	v_add3_u32 v27, v27, v7, v8
	s_waitcnt lgkmcnt(0)
	v_add3_u32 v27, v27, v1, v2
	s_delay_alu instid0(VALU_DEP_1) | instskip(NEXT) | instid1(VALU_DEP_1)
	v_add3_u32 v4, v27, v3, v4
	v_mov_b32_dpp v27, v4 row_shr:1 row_mask:0xf bank_mask:0xf
	s_delay_alu instid0(VALU_DEP_1) | instskip(NEXT) | instid1(VALU_DEP_1)
	v_cndmask_b32_e64 v27, v27, 0, s4
	v_add_nc_u32_e32 v4, v27, v4
	s_delay_alu instid0(VALU_DEP_1) | instskip(NEXT) | instid1(VALU_DEP_1)
	v_mov_b32_dpp v27, v4 row_shr:2 row_mask:0xf bank_mask:0xf
	v_cndmask_b32_e64 v27, 0, v27, s5
	s_delay_alu instid0(VALU_DEP_1) | instskip(NEXT) | instid1(VALU_DEP_1)
	v_add_nc_u32_e32 v4, v4, v27
	v_mov_b32_dpp v27, v4 row_shr:4 row_mask:0xf bank_mask:0xf
	s_delay_alu instid0(VALU_DEP_1) | instskip(NEXT) | instid1(VALU_DEP_1)
	v_cndmask_b32_e64 v27, 0, v27, s6
	v_add_nc_u32_e32 v4, v4, v27
	s_delay_alu instid0(VALU_DEP_1) | instskip(NEXT) | instid1(VALU_DEP_1)
	v_mov_b32_dpp v27, v4 row_shr:8 row_mask:0xf bank_mask:0xf
	v_cndmask_b32_e64 v27, 0, v27, s7
	s_delay_alu instid0(VALU_DEP_1) | instskip(SKIP_3) | instid1(VALU_DEP_1)
	v_add_nc_u32_e32 v4, v4, v27
	ds_swizzle_b32 v27, v4 offset:swizzle(BROADCAST,32,15)
	s_waitcnt lgkmcnt(0)
	v_cndmask_b32_e64 v27, v27, 0, s8
	v_add_nc_u32_e32 v4, v4, v27
	s_and_saveexec_b32 s22, s9
	s_cbranch_execz .LBB39_36
; %bb.35:                               ;   in Loop: Header=BB39_25 Depth=1
	ds_store_b32 v43, v4 offset:1056
.LBB39_36:                              ;   in Loop: Header=BB39_25 Depth=1
	s_or_b32 exec_lo, exec_lo, s22
	s_waitcnt lgkmcnt(0)
	s_barrier
	buffer_gl0_inv
	s_and_saveexec_b32 s22, s2
	s_cbranch_execz .LBB39_38
; %bb.37:                               ;   in Loop: Header=BB39_25 Depth=1
	ds_load_b32 v27, v42 offset:1056
	s_waitcnt lgkmcnt(0)
	v_mov_b32_dpp v28, v27 row_shr:1 row_mask:0xf bank_mask:0xf
	s_delay_alu instid0(VALU_DEP_1) | instskip(NEXT) | instid1(VALU_DEP_1)
	v_cndmask_b32_e64 v28, v28, 0, s10
	v_add_nc_u32_e32 v27, v28, v27
	ds_store_b32 v42, v27 offset:1056
.LBB39_38:                              ;   in Loop: Header=BB39_25 Depth=1
	s_or_b32 exec_lo, exec_lo, s22
	v_mov_b32_e32 v27, 0
	s_waitcnt lgkmcnt(0)
	s_barrier
	buffer_gl0_inv
	s_and_saveexec_b32 s22, s1
	s_cbranch_execz .LBB39_40
; %bb.39:                               ;   in Loop: Header=BB39_25 Depth=1
	ds_load_b32 v27, v43 offset:1052
.LBB39_40:                              ;   in Loop: Header=BB39_25 Depth=1
	s_or_b32 exec_lo, exec_lo, s22
	s_waitcnt lgkmcnt(0)
	v_add_nc_u32_e32 v4, v27, v4
	ds_load_b32 v28, v50 offset:1060
	s_cmp_gt_u32 s20, 59
	ds_bpermute_b32 v4, v44, v4
	s_waitcnt lgkmcnt(0)
	v_cndmask_b32_e64 v4, v4, v27, s3
	s_delay_alu instid0(VALU_DEP_1) | instskip(NEXT) | instid1(VALU_DEP_1)
	v_lshl_add_u32 v4, v28, 16, v4
	v_add_nc_u32_e32 v5, v4, v5
	s_delay_alu instid0(VALU_DEP_1) | instskip(NEXT) | instid1(VALU_DEP_1)
	v_add_nc_u32_e32 v6, v5, v6
	v_add_nc_u32_e32 v7, v6, v7
	s_delay_alu instid0(VALU_DEP_1) | instskip(SKIP_1) | instid1(VALU_DEP_2)
	v_add_nc_u32_e32 v27, v7, v8
	v_and_b32_e32 v8, 0xffff, v21
	v_add_nc_u32_e32 v28, v27, v1
	s_delay_alu instid0(VALU_DEP_1) | instskip(NEXT) | instid1(VALU_DEP_1)
	v_add_nc_u32_e32 v1, v28, v2
	v_add_nc_u32_e32 v2, v1, v3
	ds_store_2addr_b64 v40, v[4:5], v[6:7] offset1:1
	ds_store_2addr_b64 v40, v[27:28], v[1:2] offset0:2 offset1:3
	s_waitcnt lgkmcnt(0)
	s_barrier
	buffer_gl0_inv
	ds_load_u16 v1, v18
	ds_load_u16 v2, v20
	;; [unrolled: 1-line block ×5, first 2 shown]
	v_and_b32_e32 v6, 0xffff, v17
	v_and_b32_e32 v7, 0xffff, v19
	;; [unrolled: 1-line block ×4, first 2 shown]
	s_waitcnt lgkmcnt(4)
	v_add_nc_u32_e32 v55, v1, v6
	s_waitcnt lgkmcnt(3)
	v_add_nc_u32_e32 v54, v2, v7
	;; [unrolled: 2-line block ×5, first 2 shown]
	s_cbranch_scc0 .LBB39_24
; %bb.41:
                                        ; implicit-def: $vgpr29_vgpr30
                                        ; implicit-def: $vgpr27_vgpr28
                                        ; implicit-def: $vgpr23_vgpr24
                                        ; implicit-def: $vgpr45
                                        ; implicit-def: $vgpr20
                                        ; implicit-def: $sgpr20_sgpr21
.LBB39_42:
	v_lshlrev_b32_e32 v0, 3, v55
	v_lshlrev_b32_e32 v17, 3, v54
	;; [unrolled: 1-line block ×5, first 2 shown]
	s_barrier
	buffer_gl0_inv
	ds_store_b64 v0, v[35:36]
	ds_store_b64 v17, v[33:34]
	;; [unrolled: 1-line block ×5, first 2 shown]
	s_waitcnt lgkmcnt(0)
	s_barrier
	buffer_gl0_inv
	ds_load_2addr_b64 v[1:4], v41 offset1:1
	ds_load_2addr_b64 v[5:8], v41 offset0:2 offset1:3
	ds_load_b64 v[9:10], v41 offset:32
	v_lshlrev_b32_e32 v15, 2, v55
	v_lshlrev_b32_e32 v16, 2, v54
	v_lshlrev_b32_e32 v21, 2, v53
	v_lshlrev_b32_e32 v22, 2, v52
	v_lshlrev_b32_e32 v23, 2, v51
	v_sub_nc_u32_e32 v0, v0, v15
	v_sub_nc_u32_e32 v15, v17, v16
	;; [unrolled: 1-line block ×5, first 2 shown]
	s_waitcnt lgkmcnt(0)
	s_barrier
	buffer_gl0_inv
	ds_store_b32 v0, v48
	ds_store_b32 v15, v47
	ds_store_b32 v16, v46
	ds_store_b32 v17, v38
	ds_store_b32 v18, v37
	s_waitcnt lgkmcnt(0)
	s_barrier
.LBB39_43:
	v_cmp_lt_i64_e32 vcc_lo, -1, v[1:2]
	v_ashrrev_i32_e32 v0, 31, v2
	v_ashrrev_i32_e32 v21, 31, v4
	s_waitcnt vmcnt(0)
	buffer_gl0_inv
	ds_load_2addr_b32 v[15:16], v39 offset1:1
	ds_load_2addr_b32 v[17:18], v39 offset0:2 offset1:3
	ds_load_b32 v20, v39 offset:16
	v_not_b32_e32 v0, v0
	v_cndmask_b32_e64 v19, 0x80000000, -1, vcc_lo
	v_cmp_lt_i64_e32 vcc_lo, -1, v[3:4]
	s_delay_alu instid0(VALU_DEP_3) | instskip(NEXT) | instid1(VALU_DEP_3)
	v_xor_b32_e32 v1, v0, v1
	v_xor_b32_e32 v2, v19, v2
	v_not_b32_e32 v19, v21
	v_cndmask_b32_e64 v0, 0x80000000, -1, vcc_lo
	v_cmp_lt_i64_e32 vcc_lo, -1, v[5:6]
	v_ashrrev_i32_e32 v21, 31, v6
	s_delay_alu instid0(VALU_DEP_4)
	v_xor_b32_e32 v3, v19, v3
	v_ashrrev_i32_e32 v19, 31, v8
	v_xor_b32_e32 v4, v0, v4
	v_cndmask_b32_e64 v22, 0x80000000, -1, vcc_lo
	v_cmp_lt_i64_e32 vcc_lo, -1, v[7:8]
	v_not_b32_e32 v0, v21
	v_ashrrev_i32_e32 v21, 31, v10
	v_not_b32_e32 v19, v19
	v_xor_b32_e32 v6, v22, v6
	v_cndmask_b32_e64 v22, 0x80000000, -1, vcc_lo
	v_cmp_lt_i64_e32 vcc_lo, -1, v[9:10]
	v_not_b32_e32 v21, v21
	v_xor_b32_e32 v5, v0, v5
	v_xor_b32_e32 v7, v19, v7
	;; [unrolled: 1-line block ×3, first 2 shown]
	v_cndmask_b32_e64 v23, 0x80000000, -1, vcc_lo
	v_xor_b32_e32 v9, v21, v9
	s_delay_alu instid0(VALU_DEP_2)
	v_xor_b32_e32 v10, v23, v10
	s_clause 0x2
	global_store_b128 v[13:14], v[1:4], off
	global_store_b128 v[13:14], v[5:8], off offset:16
	global_store_b64 v[13:14], v[9:10], off offset:32
	s_waitcnt lgkmcnt(1)
	global_store_b128 v[11:12], v[15:18], off
	s_waitcnt lgkmcnt(0)
	global_store_b32 v[11:12], v20, off offset:16
	s_nop 0
	s_sendmsg sendmsg(MSG_DEALLOC_VGPRS)
	s_endpgm
	.section	.rodata,"a",@progbits
	.p2align	6, 0x0
	.amdhsa_kernel _Z21sort_key_value_kernelILj33ELj5ELb0ELb0EdiEvPT3_PT4_jj
		.amdhsa_group_segment_fixed_size 1328
		.amdhsa_private_segment_fixed_size 0
		.amdhsa_kernarg_size 24
		.amdhsa_user_sgpr_count 15
		.amdhsa_user_sgpr_dispatch_ptr 0
		.amdhsa_user_sgpr_queue_ptr 0
		.amdhsa_user_sgpr_kernarg_segment_ptr 1
		.amdhsa_user_sgpr_dispatch_id 0
		.amdhsa_user_sgpr_private_segment_size 0
		.amdhsa_wavefront_size32 1
		.amdhsa_uses_dynamic_stack 0
		.amdhsa_enable_private_segment 0
		.amdhsa_system_sgpr_workgroup_id_x 1
		.amdhsa_system_sgpr_workgroup_id_y 0
		.amdhsa_system_sgpr_workgroup_id_z 0
		.amdhsa_system_sgpr_workgroup_info 0
		.amdhsa_system_vgpr_workitem_id 0
		.amdhsa_next_free_vgpr 66
		.amdhsa_next_free_sgpr 28
		.amdhsa_reserve_vcc 1
		.amdhsa_float_round_mode_32 0
		.amdhsa_float_round_mode_16_64 0
		.amdhsa_float_denorm_mode_32 3
		.amdhsa_float_denorm_mode_16_64 3
		.amdhsa_dx10_clamp 1
		.amdhsa_ieee_mode 1
		.amdhsa_fp16_overflow 0
		.amdhsa_workgroup_processor_mode 1
		.amdhsa_memory_ordered 1
		.amdhsa_forward_progress 0
		.amdhsa_shared_vgpr_count 0
		.amdhsa_exception_fp_ieee_invalid_op 0
		.amdhsa_exception_fp_denorm_src 0
		.amdhsa_exception_fp_ieee_div_zero 0
		.amdhsa_exception_fp_ieee_overflow 0
		.amdhsa_exception_fp_ieee_underflow 0
		.amdhsa_exception_fp_ieee_inexact 0
		.amdhsa_exception_int_div_zero 0
	.end_amdhsa_kernel
	.section	.text._Z21sort_key_value_kernelILj33ELj5ELb0ELb0EdiEvPT3_PT4_jj,"axG",@progbits,_Z21sort_key_value_kernelILj33ELj5ELb0ELb0EdiEvPT3_PT4_jj,comdat
.Lfunc_end39:
	.size	_Z21sort_key_value_kernelILj33ELj5ELb0ELb0EdiEvPT3_PT4_jj, .Lfunc_end39-_Z21sort_key_value_kernelILj33ELj5ELb0ELb0EdiEvPT3_PT4_jj
                                        ; -- End function
	.section	.AMDGPU.csdata,"",@progbits
; Kernel info:
; codeLenInByte = 4576
; NumSgprs: 30
; NumVgprs: 66
; ScratchSize: 0
; MemoryBound: 0
; FloatMode: 240
; IeeeMode: 1
; LDSByteSize: 1328 bytes/workgroup (compile time only)
; SGPRBlocks: 3
; VGPRBlocks: 8
; NumSGPRsForWavesPerEU: 30
; NumVGPRsForWavesPerEU: 66
; Occupancy: 16
; WaveLimiterHint : 0
; COMPUTE_PGM_RSRC2:SCRATCH_EN: 0
; COMPUTE_PGM_RSRC2:USER_SGPR: 15
; COMPUTE_PGM_RSRC2:TRAP_HANDLER: 0
; COMPUTE_PGM_RSRC2:TGID_X_EN: 1
; COMPUTE_PGM_RSRC2:TGID_Y_EN: 0
; COMPUTE_PGM_RSRC2:TGID_Z_EN: 0
; COMPUTE_PGM_RSRC2:TIDIG_COMP_CNT: 0
	.section	.text._Z21sort_key_value_kernelILj256ELj7ELb0ELb0EtcEvPT3_PT4_jj,"axG",@progbits,_Z21sort_key_value_kernelILj256ELj7ELb0ELb0EtcEvPT3_PT4_jj,comdat
	.protected	_Z21sort_key_value_kernelILj256ELj7ELb0ELb0EtcEvPT3_PT4_jj ; -- Begin function _Z21sort_key_value_kernelILj256ELj7ELb0ELb0EtcEvPT3_PT4_jj
	.globl	_Z21sort_key_value_kernelILj256ELj7ELb0ELb0EtcEvPT3_PT4_jj
	.p2align	8
	.type	_Z21sort_key_value_kernelILj256ELj7ELb0ELb0EtcEvPT3_PT4_jj,@function
_Z21sort_key_value_kernelILj256ELj7ELb0ELb0EtcEvPT3_PT4_jj: ; @_Z21sort_key_value_kernelILj256ELj7ELb0ELb0EtcEvPT3_PT4_jj
; %bb.0:
	s_clause 0x1
	s_load_b128 s[4:7], s[0:1], 0x0
	s_load_b64 s[20:21], s[0:1], 0x10
	v_and_b32_e32 v8, 0x3ff, v0
	s_mov_b32 s23, 0
	s_mul_i32 s22, s15, 0x700
	v_bfe_u32 v26, v0, 10, 10
	s_lshl_b64 s[2:3], s[22:23], 1
	v_mul_u32_u24_e32 v17, 7, v8
	v_bfe_u32 v27, v0, 20, 10
	v_lshrrev_b32_e32 v0, 5, v8
	v_mbcnt_lo_u32_b32 v21, -1, 0
	v_lshlrev_b32_e32 v19, 5, v8
	v_lshlrev_b32_e32 v18, 1, v17
	v_and_b32_e32 v23, 0x3e0, v8
	v_mul_u32_u24_e32 v5, 0xe0, v0
	v_and_b32_e32 v25, 15, v21
	v_and_b32_e32 v24, 16, v21
	v_add_nc_u32_e32 v22, -1, v21
	v_lshlrev_b32_e32 v20, 2, v0
	v_mad_u32_u24 v31, v21, 7, v5
	s_waitcnt lgkmcnt(0)
	s_add_u32 s16, s4, s2
	s_addc_u32 s17, s5, s3
	s_add_u32 s18, s6, s22
	s_addc_u32 s19, s7, 0
	s_cmp_lg_u32 s20, 0
	global_load_u16 v28, v17, s[18:19] offset:4
	s_clause 0x1
	global_load_b96 v[1:3], v18, s[16:17]
	global_load_u16 v4, v18, s[16:17] offset:12
	s_clause 0x1
	global_load_b32 v13, v17, s[18:19]
	global_load_i8 v29, v17, s[18:19] offset:6
	v_or_b32_e32 v30, v21, v5
	s_cselect_b32 s7, -1, 0
	s_cmp_lg_u32 s21, 16
	v_cmp_eq_u32_e64 s2, 0, v21
	s_cselect_b32 s8, -1, 0
	v_cmp_gt_u32_e64 s3, 8, v8
	v_cmp_lt_u32_e64 s4, 31, v8
	v_cmp_eq_u32_e64 s5, 0, v8
	v_lshlrev_b32_e32 v0, 1, v31
	v_lshlrev_b32_e32 v35, 1, v30
	s_or_b32 s7, s7, s8
	s_mov_b32 s6, -1
	s_and_b32 vcc_lo, exec_lo, s7
	s_waitcnt vmcnt(3)
	ds_store_b96 v0, v[1:3]
	s_waitcnt vmcnt(2)
	ds_store_b16 v0, v4 offset:12
	v_and_b32_e32 v14, 0xffff, v28
	s_waitcnt vmcnt(1)
	v_lshrrev_b32_e32 v33, 8, v13
	v_lshrrev_b32_e32 v34, 16, v13
	s_delay_alu instid0(VALU_DEP_3)
	v_lshrrev_b64 v[15:16], 24, v[13:14]
	v_lshrrev_b32_e32 v32, 8, v14
	v_mul_i32_i24_e32 v14, 0xffffffe4, v8
	v_and_b32_e32 v16, 7, v21
	s_cbranch_vccz .LBB40_26
; %bb.1:
	; wave barrier
	ds_load_u16 v36, v35
	ds_load_u16 v0, v35 offset:128
	ds_load_u16 v1, v35 offset:256
	;; [unrolled: 1-line block ×3, first 2 shown]
	v_min_u32_e32 v11, 0xe0, v23
	v_cmp_gt_i32_e32 vcc_lo, 0, v22
	v_add_nc_u32_e32 v37, 32, v19
	s_mov_b32 s22, s23
	s_mov_b32 s24, s23
	v_or_b32_e32 v11, 31, v11
	v_cndmask_b32_e32 v12, v22, v21, vcc_lo
	s_mov_b32 s25, s23
	v_cmp_eq_u32_e64 s6, 0, v25
	v_cmp_lt_u32_e64 s7, 1, v25
	v_cmp_lt_u32_e64 s8, 3, v25
	v_cmp_lt_u32_e64 s9, 7, v25
	v_cmp_eq_u32_e64 s10, 0, v24
	v_cmp_eq_u32_e64 s11, 0, v16
	v_cmp_lt_u32_e64 s14, 3, v16
	v_add_nc_u32_e32 v41, -4, v20
	v_add_nc_u32_e32 v43, v19, v14
	s_waitcnt lgkmcnt(3)
	ds_load_u16_d16_hi v36, v35 offset:64
	s_waitcnt lgkmcnt(3)
	ds_load_u16_d16_hi v0, v35 offset:192
	;; [unrolled: 2-line block ×3, first 2 shown]
	s_waitcnt vmcnt(0) lgkmcnt(0)
	s_barrier
	buffer_gl0_inv
	ds_store_b8 v31, v13
	ds_store_b8 v31, v33 offset:1
	ds_store_b8 v31, v34 offset:2
	;; [unrolled: 1-line block ×6, first 2 shown]
	; wave barrier
	ds_load_u8 v9, v30
	ds_load_u8 v6, v30 offset:32
	ds_load_u8 v10, v30 offset:64
	;; [unrolled: 1-line block ×6, first 2 shown]
	s_waitcnt lgkmcnt(0)
	s_barrier
	buffer_gl0_inv
	s_load_b32 s12, s[0:1], 0x24
	v_lshlrev_b16 v39, 8, v6
	v_lshlrev_b16 v40, 8, v7
	s_delay_alu instid0(VALU_DEP_1)
	v_or_b32_e32 v10, v10, v40
	s_waitcnt lgkmcnt(0)
	s_lshr_b32 s13, s12, 16
	s_and_b32 s12, s12, 0xffff
	v_mad_u32_u24 v38, v27, s13, v26
	v_cmp_lt_u32_e64 s13, 1, v16
	s_delay_alu instid0(VALU_DEP_2)
	v_mad_u64_u32 v[6:7], null, v38, s12, v[8:9]
	v_mul_u32_u24_e32 v7, 7, v23
	v_or_b32_e32 v9, v9, v39
	v_lshlrev_b32_e32 v38, 2, v12
	v_cmp_eq_u32_e64 s12, v11, v8
	v_mov_b32_e32 v11, s24
	v_or_b32_e32 v39, v21, v7
	v_lshrrev_b32_e32 v40, 5, v6
	v_and_b32_e32 v6, 0xffff, v9
	v_lshlrev_b32_e32 v7, 16, v10
	v_dual_mov_b32 v9, s22 :: v_dual_mov_b32 v10, s23
	v_lshlrev_b32_e32 v42, 1, v39
	v_mov_b32_e32 v12, s25
	s_delay_alu instid0(VALU_DEP_4)
	v_or_b32_e32 v45, v6, v7
	s_sub_i32 s22, s21, s20
	s_branch .LBB40_3
.LBB40_2:                               ;   in Loop: Header=BB40_3 Depth=1
	s_barrier
	buffer_gl0_inv
	ds_store_b16 v59, v36
	ds_store_b16 v62, v51
	;; [unrolled: 1-line block ×7, first 2 shown]
	s_waitcnt lgkmcnt(0)
	s_barrier
	buffer_gl0_inv
	ds_load_u16 v36, v42
	ds_load_u16 v0, v42 offset:128
	ds_load_u16 v1, v42 offset:256
	;; [unrolled: 1-line block ×3, first 2 shown]
	v_lshrrev_b32_e32 v3, 8, v6
	v_lshrrev_b32_e32 v4, 24, v6
	s_add_i32 s22, s22, -8
	s_waitcnt lgkmcnt(3)
	ds_load_u16_d16_hi v36, v42 offset:64
	s_waitcnt lgkmcnt(3)
	ds_load_u16_d16_hi v0, v42 offset:192
	;; [unrolled: 2-line block ×3, first 2 shown]
	s_waitcnt lgkmcnt(0)
	s_barrier
	buffer_gl0_inv
	ds_store_b8 v7, v6
	ds_store_b8 v52, v3
	ds_store_b8_d16_hi v53, v6
	ds_store_b8 v55, v4
	ds_store_b8 v56, v47
	;; [unrolled: 1-line block ×4, first 2 shown]
	s_waitcnt lgkmcnt(0)
	s_barrier
	buffer_gl0_inv
	ds_load_u8 v45, v39 offset:32
	ds_load_u8 v68, v39 offset:96
	ds_load_u8 v69, v39
	ds_load_u8 v70, v39 offset:64
	ds_load_u8 v3, v39 offset:128
	;; [unrolled: 1-line block ×4, first 2 shown]
	s_waitcnt lgkmcnt(0)
	s_barrier
	buffer_gl0_inv
	v_lshlrev_b16 v45, 8, v45
	v_lshlrev_b16 v68, 8, v68
	s_delay_alu instid0(VALU_DEP_2) | instskip(NEXT) | instid1(VALU_DEP_2)
	v_or_b32_e32 v45, v69, v45
	v_or_b32_e32 v68, v70, v68
	s_delay_alu instid0(VALU_DEP_2) | instskip(NEXT) | instid1(VALU_DEP_2)
	v_and_b32_e32 v45, 0xffff, v45
	v_lshlrev_b32_e32 v68, 16, v68
	s_delay_alu instid0(VALU_DEP_1)
	v_or_b32_e32 v45, v45, v68
	s_cbranch_execz .LBB40_25
.LBB40_3:                               ; =>This Inner Loop Header: Depth=1
	v_and_b32_e32 v6, 0xffff, v36
	s_min_u32 s15, s22, 8
	ds_store_2addr_b64 v19, v[9:10], v[11:12] offset0:4 offset1:5
	ds_store_2addr_b64 v37, v[9:10], v[11:12] offset0:2 offset1:3
	s_lshl_b32 s15, -1, s15
	s_waitcnt lgkmcnt(0)
	v_lshrrev_b32_e32 v6, s20, v6
	s_not_b32 s23, s15
	s_barrier
	buffer_gl0_inv
	v_and_b32_e32 v6, s23, v6
	; wave barrier
	s_delay_alu instid0(VALU_DEP_1)
	v_and_b32_e32 v7, 1, v6
	v_lshlrev_b32_e32 v44, 30, v6
	v_lshlrev_b32_e32 v46, 29, v6
	;; [unrolled: 1-line block ×4, first 2 shown]
	v_add_co_u32 v7, s15, v7, -1
	s_delay_alu instid0(VALU_DEP_1) | instskip(SKIP_3) | instid1(VALU_DEP_4)
	v_cndmask_b32_e64 v48, 0, 1, s15
	v_not_b32_e32 v52, v44
	v_cmp_gt_i32_e64 s15, 0, v44
	v_not_b32_e32 v44, v46
	v_cmp_ne_u32_e32 vcc_lo, 0, v48
	s_delay_alu instid0(VALU_DEP_4) | instskip(NEXT) | instid1(VALU_DEP_3)
	v_ashrrev_i32_e32 v52, 31, v52
	v_ashrrev_i32_e32 v44, 31, v44
	v_xor_b32_e32 v7, vcc_lo, v7
	v_cmp_gt_i32_e32 vcc_lo, 0, v46
	v_not_b32_e32 v46, v47
	v_xor_b32_e32 v52, s15, v52
	v_cmp_gt_i32_e64 s15, 0, v47
	v_and_b32_e32 v7, exec_lo, v7
	v_not_b32_e32 v47, v49
	v_ashrrev_i32_e32 v46, 31, v46
	v_xor_b32_e32 v44, vcc_lo, v44
	v_cmp_gt_i32_e32 vcc_lo, 0, v49
	v_and_b32_e32 v7, v7, v52
	v_ashrrev_i32_e32 v47, 31, v47
	v_xor_b32_e32 v46, s15, v46
	s_delay_alu instid0(VALU_DEP_3) | instskip(NEXT) | instid1(VALU_DEP_3)
	v_and_b32_e32 v7, v7, v44
	v_xor_b32_e32 v47, vcc_lo, v47
	s_delay_alu instid0(VALU_DEP_2) | instskip(NEXT) | instid1(VALU_DEP_1)
	v_and_b32_e32 v7, v7, v46
	v_and_b32_e32 v7, v7, v47
	v_dual_mov_b32 v47, v3 :: v_dual_lshlrev_b32 v50, 26, v6
	v_lshlrev_b32_e32 v51, 25, v6
	v_lshlrev_b32_e32 v48, 24, v6
	s_delay_alu instid0(VALU_DEP_3) | instskip(SKIP_1) | instid1(VALU_DEP_4)
	v_not_b32_e32 v49, v50
	v_cmp_gt_i32_e64 s15, 0, v50
	v_not_b32_e32 v44, v51
	v_cmp_gt_i32_e32 vcc_lo, 0, v51
	v_not_b32_e32 v46, v48
	v_ashrrev_i32_e32 v49, 31, v49
	v_mov_b32_e32 v50, v0
	v_ashrrev_i32_e32 v44, 31, v44
	v_lshl_add_u32 v0, v6, 3, v40
	v_ashrrev_i32_e32 v46, 31, v46
	v_xor_b32_e32 v49, s15, v49
	v_cmp_gt_i32_e64 s15, 0, v48
	v_xor_b32_e32 v44, vcc_lo, v44
	v_mov_b32_e32 v48, v2
	v_lshl_add_u32 v53, v0, 2, 32
	v_and_b32_e32 v7, v7, v49
	v_xor_b32_e32 v46, s15, v46
	v_mov_b32_e32 v49, v1
	s_delay_alu instid0(VALU_DEP_3) | instskip(NEXT) | instid1(VALU_DEP_1)
	v_dual_mov_b32 v44, v5 :: v_dual_and_b32 v7, v7, v44
	v_dual_mov_b32 v46, v4 :: v_dual_and_b32 v1, v7, v46
	s_delay_alu instid0(VALU_DEP_1) | instskip(SKIP_1) | instid1(VALU_DEP_2)
	v_mbcnt_lo_u32_b32 v52, v1, 0
	v_cmp_ne_u32_e64 s15, 0, v1
	v_cmp_eq_u32_e32 vcc_lo, 0, v52
	s_delay_alu instid0(VALU_DEP_2) | instskip(NEXT) | instid1(SALU_CYCLE_1)
	s_and_b32 s24, s15, vcc_lo
	s_and_saveexec_b32 s15, s24
	s_cbranch_execz .LBB40_5
; %bb.4:                                ;   in Loop: Header=BB40_3 Depth=1
	v_bcnt_u32_b32 v0, v1, 0
	ds_store_b32 v53, v0
.LBB40_5:                               ;   in Loop: Header=BB40_3 Depth=1
	s_or_b32 exec_lo, exec_lo, s15
	v_lshrrev_b32_e32 v51, 16, v36
	; wave barrier
	s_delay_alu instid0(VALU_DEP_1) | instskip(NEXT) | instid1(VALU_DEP_1)
	v_lshrrev_b32_e32 v0, s20, v51
	v_and_b32_e32 v0, s23, v0
	s_delay_alu instid0(VALU_DEP_1)
	v_and_b32_e32 v1, 1, v0
	v_lshlrev_b32_e32 v2, 30, v0
	v_lshlrev_b32_e32 v3, 29, v0
	;; [unrolled: 1-line block ×4, first 2 shown]
	v_add_co_u32 v1, s15, v1, -1
	s_delay_alu instid0(VALU_DEP_1)
	v_cndmask_b32_e64 v5, 0, 1, s15
	v_not_b32_e32 v55, v2
	v_cmp_gt_i32_e64 s15, 0, v2
	v_not_b32_e32 v2, v3
	v_lshlrev_b32_e32 v7, 26, v0
	v_cmp_ne_u32_e32 vcc_lo, 0, v5
	v_ashrrev_i32_e32 v55, 31, v55
	v_lshlrev_b32_e32 v54, 25, v0
	v_ashrrev_i32_e32 v2, 31, v2
	v_lshlrev_b32_e32 v5, 24, v0
	v_xor_b32_e32 v1, vcc_lo, v1
	v_cmp_gt_i32_e32 vcc_lo, 0, v3
	v_not_b32_e32 v3, v4
	v_xor_b32_e32 v55, s15, v55
	v_cmp_gt_i32_e64 s15, 0, v4
	v_and_b32_e32 v1, exec_lo, v1
	v_not_b32_e32 v4, v6
	v_ashrrev_i32_e32 v3, 31, v3
	v_xor_b32_e32 v2, vcc_lo, v2
	v_cmp_gt_i32_e32 vcc_lo, 0, v6
	v_and_b32_e32 v1, v1, v55
	v_not_b32_e32 v6, v7
	v_ashrrev_i32_e32 v4, 31, v4
	v_xor_b32_e32 v3, s15, v3
	v_cmp_gt_i32_e64 s15, 0, v7
	v_and_b32_e32 v1, v1, v2
	v_not_b32_e32 v2, v54
	v_ashrrev_i32_e32 v6, 31, v6
	v_xor_b32_e32 v4, vcc_lo, v4
	v_cmp_gt_i32_e32 vcc_lo, 0, v54
	v_and_b32_e32 v1, v1, v3
	v_not_b32_e32 v3, v5
	v_ashrrev_i32_e32 v2, 31, v2
	v_xor_b32_e32 v6, s15, v6
	v_lshlrev_b32_e32 v0, 3, v0
	v_and_b32_e32 v1, v1, v4
	v_cmp_gt_i32_e64 s15, 0, v5
	v_ashrrev_i32_e32 v3, 31, v3
	v_xor_b32_e32 v2, vcc_lo, v2
	v_add_lshl_u32 v4, v0, v40, 2
	v_and_b32_e32 v1, v1, v6
	s_delay_alu instid0(VALU_DEP_4) | instskip(SKIP_3) | instid1(VALU_DEP_2)
	v_xor_b32_e32 v0, s15, v3
	ds_load_b32 v55, v4 offset:32
	v_and_b32_e32 v1, v1, v2
	v_add_nc_u32_e32 v57, 32, v4
	; wave barrier
	v_and_b32_e32 v0, v1, v0
	s_delay_alu instid0(VALU_DEP_1) | instskip(SKIP_1) | instid1(VALU_DEP_2)
	v_mbcnt_lo_u32_b32 v56, v0, 0
	v_cmp_ne_u32_e64 s15, 0, v0
	v_cmp_eq_u32_e32 vcc_lo, 0, v56
	s_delay_alu instid0(VALU_DEP_2) | instskip(NEXT) | instid1(SALU_CYCLE_1)
	s_and_b32 s24, s15, vcc_lo
	s_and_saveexec_b32 s15, s24
	s_cbranch_execz .LBB40_7
; %bb.6:                                ;   in Loop: Header=BB40_3 Depth=1
	s_waitcnt lgkmcnt(0)
	v_bcnt_u32_b32 v0, v0, v55
	ds_store_b32 v57, v0
.LBB40_7:                               ;   in Loop: Header=BB40_3 Depth=1
	s_or_b32 exec_lo, exec_lo, s15
	v_and_b32_e32 v0, 0xffff, v50
	; wave barrier
	s_delay_alu instid0(VALU_DEP_1) | instskip(NEXT) | instid1(VALU_DEP_1)
	v_lshrrev_b32_e32 v0, s20, v0
	v_and_b32_e32 v0, s23, v0
	s_delay_alu instid0(VALU_DEP_1)
	v_and_b32_e32 v1, 1, v0
	v_lshlrev_b32_e32 v2, 30, v0
	v_lshlrev_b32_e32 v3, 29, v0
	;; [unrolled: 1-line block ×4, first 2 shown]
	v_add_co_u32 v1, s15, v1, -1
	s_delay_alu instid0(VALU_DEP_1)
	v_cndmask_b32_e64 v5, 0, 1, s15
	v_not_b32_e32 v58, v2
	v_cmp_gt_i32_e64 s15, 0, v2
	v_not_b32_e32 v2, v3
	v_lshlrev_b32_e32 v7, 26, v0
	v_cmp_ne_u32_e32 vcc_lo, 0, v5
	v_ashrrev_i32_e32 v58, 31, v58
	v_lshlrev_b32_e32 v54, 25, v0
	v_ashrrev_i32_e32 v2, 31, v2
	v_lshlrev_b32_e32 v5, 24, v0
	v_xor_b32_e32 v1, vcc_lo, v1
	v_cmp_gt_i32_e32 vcc_lo, 0, v3
	v_not_b32_e32 v3, v4
	v_xor_b32_e32 v58, s15, v58
	v_cmp_gt_i32_e64 s15, 0, v4
	v_and_b32_e32 v1, exec_lo, v1
	v_not_b32_e32 v4, v6
	v_ashrrev_i32_e32 v3, 31, v3
	v_xor_b32_e32 v2, vcc_lo, v2
	v_cmp_gt_i32_e32 vcc_lo, 0, v6
	v_and_b32_e32 v1, v1, v58
	v_not_b32_e32 v6, v7
	v_ashrrev_i32_e32 v4, 31, v4
	v_xor_b32_e32 v3, s15, v3
	v_cmp_gt_i32_e64 s15, 0, v7
	v_and_b32_e32 v1, v1, v2
	v_not_b32_e32 v2, v54
	v_ashrrev_i32_e32 v6, 31, v6
	v_xor_b32_e32 v4, vcc_lo, v4
	v_cmp_gt_i32_e32 vcc_lo, 0, v54
	v_and_b32_e32 v1, v1, v3
	v_not_b32_e32 v3, v5
	v_ashrrev_i32_e32 v2, 31, v2
	v_xor_b32_e32 v6, s15, v6
	v_lshlrev_b32_e32 v0, 3, v0
	v_and_b32_e32 v1, v1, v4
	v_cmp_gt_i32_e64 s15, 0, v5
	v_ashrrev_i32_e32 v3, 31, v3
	v_xor_b32_e32 v2, vcc_lo, v2
	v_add_lshl_u32 v4, v0, v40, 2
	v_and_b32_e32 v1, v1, v6
	s_delay_alu instid0(VALU_DEP_4) | instskip(SKIP_3) | instid1(VALU_DEP_2)
	v_xor_b32_e32 v0, s15, v3
	ds_load_b32 v58, v4 offset:32
	v_and_b32_e32 v1, v1, v2
	v_add_nc_u32_e32 v60, 32, v4
	; wave barrier
	v_and_b32_e32 v0, v1, v0
	s_delay_alu instid0(VALU_DEP_1) | instskip(SKIP_1) | instid1(VALU_DEP_2)
	v_mbcnt_lo_u32_b32 v59, v0, 0
	v_cmp_ne_u32_e64 s15, 0, v0
	v_cmp_eq_u32_e32 vcc_lo, 0, v59
	s_delay_alu instid0(VALU_DEP_2) | instskip(NEXT) | instid1(SALU_CYCLE_1)
	s_and_b32 s24, s15, vcc_lo
	s_and_saveexec_b32 s15, s24
	s_cbranch_execz .LBB40_9
; %bb.8:                                ;   in Loop: Header=BB40_3 Depth=1
	s_waitcnt lgkmcnt(0)
	v_bcnt_u32_b32 v0, v0, v58
	ds_store_b32 v60, v0
.LBB40_9:                               ;   in Loop: Header=BB40_3 Depth=1
	s_or_b32 exec_lo, exec_lo, s15
	v_lshrrev_b32_e32 v54, 16, v50
	; wave barrier
	s_delay_alu instid0(VALU_DEP_1) | instskip(NEXT) | instid1(VALU_DEP_1)
	v_lshrrev_b32_e32 v0, s20, v54
	v_and_b32_e32 v0, s23, v0
	s_delay_alu instid0(VALU_DEP_1)
	v_and_b32_e32 v1, 1, v0
	v_lshlrev_b32_e32 v2, 30, v0
	v_lshlrev_b32_e32 v3, 29, v0
	;; [unrolled: 1-line block ×4, first 2 shown]
	v_add_co_u32 v1, s15, v1, -1
	s_delay_alu instid0(VALU_DEP_1)
	v_cndmask_b32_e64 v5, 0, 1, s15
	v_not_b32_e32 v62, v2
	v_cmp_gt_i32_e64 s15, 0, v2
	v_not_b32_e32 v2, v3
	v_lshlrev_b32_e32 v7, 26, v0
	v_cmp_ne_u32_e32 vcc_lo, 0, v5
	v_ashrrev_i32_e32 v62, 31, v62
	v_lshlrev_b32_e32 v61, 25, v0
	v_ashrrev_i32_e32 v2, 31, v2
	v_lshlrev_b32_e32 v5, 24, v0
	v_xor_b32_e32 v1, vcc_lo, v1
	v_cmp_gt_i32_e32 vcc_lo, 0, v3
	v_not_b32_e32 v3, v4
	v_xor_b32_e32 v62, s15, v62
	v_cmp_gt_i32_e64 s15, 0, v4
	v_and_b32_e32 v1, exec_lo, v1
	v_not_b32_e32 v4, v6
	v_ashrrev_i32_e32 v3, 31, v3
	v_xor_b32_e32 v2, vcc_lo, v2
	v_cmp_gt_i32_e32 vcc_lo, 0, v6
	v_and_b32_e32 v1, v1, v62
	v_not_b32_e32 v6, v7
	v_ashrrev_i32_e32 v4, 31, v4
	v_xor_b32_e32 v3, s15, v3
	v_cmp_gt_i32_e64 s15, 0, v7
	v_and_b32_e32 v1, v1, v2
	v_not_b32_e32 v2, v61
	v_ashrrev_i32_e32 v6, 31, v6
	v_xor_b32_e32 v4, vcc_lo, v4
	v_cmp_gt_i32_e32 vcc_lo, 0, v61
	v_and_b32_e32 v1, v1, v3
	v_not_b32_e32 v3, v5
	v_ashrrev_i32_e32 v2, 31, v2
	v_xor_b32_e32 v6, s15, v6
	v_lshlrev_b32_e32 v0, 3, v0
	v_and_b32_e32 v1, v1, v4
	v_cmp_gt_i32_e64 s15, 0, v5
	v_ashrrev_i32_e32 v3, 31, v3
	v_xor_b32_e32 v2, vcc_lo, v2
	v_add_lshl_u32 v4, v0, v40, 2
	v_and_b32_e32 v1, v1, v6
	s_delay_alu instid0(VALU_DEP_4) | instskip(SKIP_3) | instid1(VALU_DEP_2)
	v_xor_b32_e32 v0, s15, v3
	ds_load_b32 v62, v4 offset:32
	v_and_b32_e32 v1, v1, v2
	v_add_nc_u32_e32 v64, 32, v4
	; wave barrier
	v_and_b32_e32 v0, v1, v0
	s_delay_alu instid0(VALU_DEP_1) | instskip(SKIP_1) | instid1(VALU_DEP_2)
	v_mbcnt_lo_u32_b32 v63, v0, 0
	v_cmp_ne_u32_e64 s15, 0, v0
	v_cmp_eq_u32_e32 vcc_lo, 0, v63
	s_delay_alu instid0(VALU_DEP_2) | instskip(NEXT) | instid1(SALU_CYCLE_1)
	s_and_b32 s24, s15, vcc_lo
	s_and_saveexec_b32 s15, s24
	s_cbranch_execz .LBB40_11
; %bb.10:                               ;   in Loop: Header=BB40_3 Depth=1
	s_waitcnt lgkmcnt(0)
	v_bcnt_u32_b32 v0, v0, v62
	ds_store_b32 v64, v0
.LBB40_11:                              ;   in Loop: Header=BB40_3 Depth=1
	s_or_b32 exec_lo, exec_lo, s15
	v_and_b32_e32 v0, 0xffff, v49
	; wave barrier
	s_delay_alu instid0(VALU_DEP_1) | instskip(NEXT) | instid1(VALU_DEP_1)
	v_lshrrev_b32_e32 v0, s20, v0
	v_and_b32_e32 v0, s23, v0
	s_delay_alu instid0(VALU_DEP_1)
	v_and_b32_e32 v1, 1, v0
	v_lshlrev_b32_e32 v2, 30, v0
	v_lshlrev_b32_e32 v3, 29, v0
	v_lshlrev_b32_e32 v4, 28, v0
	v_lshlrev_b32_e32 v6, 27, v0
	v_add_co_u32 v1, s15, v1, -1
	s_delay_alu instid0(VALU_DEP_1)
	v_cndmask_b32_e64 v5, 0, 1, s15
	v_not_b32_e32 v65, v2
	v_cmp_gt_i32_e64 s15, 0, v2
	v_not_b32_e32 v2, v3
	v_lshlrev_b32_e32 v7, 26, v0
	v_cmp_ne_u32_e32 vcc_lo, 0, v5
	v_ashrrev_i32_e32 v65, 31, v65
	v_lshlrev_b32_e32 v61, 25, v0
	v_ashrrev_i32_e32 v2, 31, v2
	v_lshlrev_b32_e32 v5, 24, v0
	v_xor_b32_e32 v1, vcc_lo, v1
	v_cmp_gt_i32_e32 vcc_lo, 0, v3
	v_not_b32_e32 v3, v4
	v_xor_b32_e32 v65, s15, v65
	v_cmp_gt_i32_e64 s15, 0, v4
	v_and_b32_e32 v1, exec_lo, v1
	v_not_b32_e32 v4, v6
	v_ashrrev_i32_e32 v3, 31, v3
	v_xor_b32_e32 v2, vcc_lo, v2
	v_cmp_gt_i32_e32 vcc_lo, 0, v6
	v_and_b32_e32 v1, v1, v65
	v_not_b32_e32 v6, v7
	v_ashrrev_i32_e32 v4, 31, v4
	v_xor_b32_e32 v3, s15, v3
	v_cmp_gt_i32_e64 s15, 0, v7
	v_and_b32_e32 v1, v1, v2
	v_not_b32_e32 v2, v61
	v_ashrrev_i32_e32 v6, 31, v6
	v_xor_b32_e32 v4, vcc_lo, v4
	v_cmp_gt_i32_e32 vcc_lo, 0, v61
	v_and_b32_e32 v1, v1, v3
	v_not_b32_e32 v3, v5
	v_ashrrev_i32_e32 v2, 31, v2
	v_xor_b32_e32 v6, s15, v6
	v_lshlrev_b32_e32 v0, 3, v0
	v_and_b32_e32 v1, v1, v4
	v_cmp_gt_i32_e64 s15, 0, v5
	v_ashrrev_i32_e32 v3, 31, v3
	v_xor_b32_e32 v2, vcc_lo, v2
	v_add_lshl_u32 v4, v0, v40, 2
	v_and_b32_e32 v1, v1, v6
	s_delay_alu instid0(VALU_DEP_4) | instskip(SKIP_3) | instid1(VALU_DEP_2)
	v_xor_b32_e32 v0, s15, v3
	ds_load_b32 v65, v4 offset:32
	v_and_b32_e32 v1, v1, v2
	v_add_nc_u32_e32 v67, 32, v4
	; wave barrier
	v_and_b32_e32 v0, v1, v0
	s_delay_alu instid0(VALU_DEP_1) | instskip(SKIP_1) | instid1(VALU_DEP_2)
	v_mbcnt_lo_u32_b32 v66, v0, 0
	v_cmp_ne_u32_e64 s15, 0, v0
	v_cmp_eq_u32_e32 vcc_lo, 0, v66
	s_delay_alu instid0(VALU_DEP_2) | instskip(NEXT) | instid1(SALU_CYCLE_1)
	s_and_b32 s24, s15, vcc_lo
	s_and_saveexec_b32 s15, s24
	s_cbranch_execz .LBB40_13
; %bb.12:                               ;   in Loop: Header=BB40_3 Depth=1
	s_waitcnt lgkmcnt(0)
	v_bcnt_u32_b32 v0, v0, v65
	ds_store_b32 v67, v0
.LBB40_13:                              ;   in Loop: Header=BB40_3 Depth=1
	s_or_b32 exec_lo, exec_lo, s15
	v_lshrrev_b32_e32 v61, 16, v49
	; wave barrier
	s_delay_alu instid0(VALU_DEP_1) | instskip(NEXT) | instid1(VALU_DEP_1)
	v_lshrrev_b32_e32 v0, s20, v61
	v_and_b32_e32 v0, s23, v0
	s_delay_alu instid0(VALU_DEP_1)
	v_and_b32_e32 v1, 1, v0
	v_lshlrev_b32_e32 v2, 30, v0
	v_lshlrev_b32_e32 v3, 29, v0
	;; [unrolled: 1-line block ×4, first 2 shown]
	v_add_co_u32 v1, s15, v1, -1
	s_delay_alu instid0(VALU_DEP_1)
	v_cndmask_b32_e64 v5, 0, 1, s15
	v_not_b32_e32 v69, v2
	v_cmp_gt_i32_e64 s15, 0, v2
	v_not_b32_e32 v2, v3
	v_lshlrev_b32_e32 v7, 26, v0
	v_cmp_ne_u32_e32 vcc_lo, 0, v5
	v_ashrrev_i32_e32 v69, 31, v69
	v_lshlrev_b32_e32 v68, 25, v0
	v_ashrrev_i32_e32 v2, 31, v2
	v_lshlrev_b32_e32 v5, 24, v0
	v_xor_b32_e32 v1, vcc_lo, v1
	v_cmp_gt_i32_e32 vcc_lo, 0, v3
	v_not_b32_e32 v3, v4
	v_xor_b32_e32 v69, s15, v69
	v_cmp_gt_i32_e64 s15, 0, v4
	v_and_b32_e32 v1, exec_lo, v1
	v_not_b32_e32 v4, v6
	v_ashrrev_i32_e32 v3, 31, v3
	v_xor_b32_e32 v2, vcc_lo, v2
	v_cmp_gt_i32_e32 vcc_lo, 0, v6
	v_and_b32_e32 v1, v1, v69
	v_not_b32_e32 v6, v7
	v_ashrrev_i32_e32 v4, 31, v4
	v_xor_b32_e32 v3, s15, v3
	v_cmp_gt_i32_e64 s15, 0, v7
	v_and_b32_e32 v1, v1, v2
	v_not_b32_e32 v2, v68
	v_ashrrev_i32_e32 v6, 31, v6
	v_xor_b32_e32 v4, vcc_lo, v4
	v_cmp_gt_i32_e32 vcc_lo, 0, v68
	v_and_b32_e32 v1, v1, v3
	v_not_b32_e32 v3, v5
	v_ashrrev_i32_e32 v2, 31, v2
	v_xor_b32_e32 v6, s15, v6
	v_lshlrev_b32_e32 v0, 3, v0
	v_and_b32_e32 v1, v1, v4
	v_cmp_gt_i32_e64 s15, 0, v5
	v_ashrrev_i32_e32 v3, 31, v3
	v_xor_b32_e32 v2, vcc_lo, v2
	v_add_lshl_u32 v4, v0, v40, 2
	v_and_b32_e32 v1, v1, v6
	s_delay_alu instid0(VALU_DEP_4) | instskip(SKIP_3) | instid1(VALU_DEP_2)
	v_xor_b32_e32 v0, s15, v3
	ds_load_b32 v68, v4 offset:32
	v_and_b32_e32 v1, v1, v2
	v_add_nc_u32_e32 v70, 32, v4
	; wave barrier
	v_and_b32_e32 v0, v1, v0
	s_delay_alu instid0(VALU_DEP_1) | instskip(SKIP_1) | instid1(VALU_DEP_2)
	v_mbcnt_lo_u32_b32 v69, v0, 0
	v_cmp_ne_u32_e64 s15, 0, v0
	v_cmp_eq_u32_e32 vcc_lo, 0, v69
	s_delay_alu instid0(VALU_DEP_2) | instskip(NEXT) | instid1(SALU_CYCLE_1)
	s_and_b32 s24, s15, vcc_lo
	s_and_saveexec_b32 s15, s24
	s_cbranch_execz .LBB40_15
; %bb.14:                               ;   in Loop: Header=BB40_3 Depth=1
	s_waitcnt lgkmcnt(0)
	v_bcnt_u32_b32 v0, v0, v68
	ds_store_b32 v70, v0
.LBB40_15:                              ;   in Loop: Header=BB40_3 Depth=1
	s_or_b32 exec_lo, exec_lo, s15
	v_and_b32_e32 v0, 0xffff, v48
	; wave barrier
	s_delay_alu instid0(VALU_DEP_1) | instskip(NEXT) | instid1(VALU_DEP_1)
	v_lshrrev_b32_e32 v0, s20, v0
	v_and_b32_e32 v0, s23, v0
	s_delay_alu instid0(VALU_DEP_1)
	v_and_b32_e32 v1, 1, v0
	v_lshlrev_b32_e32 v2, 30, v0
	v_lshlrev_b32_e32 v3, 29, v0
	;; [unrolled: 1-line block ×4, first 2 shown]
	v_add_co_u32 v1, s15, v1, -1
	s_delay_alu instid0(VALU_DEP_1)
	v_cndmask_b32_e64 v5, 0, 1, s15
	v_not_b32_e32 v72, v2
	v_cmp_gt_i32_e64 s15, 0, v2
	v_not_b32_e32 v2, v3
	v_lshlrev_b32_e32 v7, 26, v0
	v_cmp_ne_u32_e32 vcc_lo, 0, v5
	v_ashrrev_i32_e32 v72, 31, v72
	v_lshlrev_b32_e32 v71, 25, v0
	v_ashrrev_i32_e32 v2, 31, v2
	v_lshlrev_b32_e32 v5, 24, v0
	v_xor_b32_e32 v1, vcc_lo, v1
	v_cmp_gt_i32_e32 vcc_lo, 0, v3
	v_not_b32_e32 v3, v4
	v_xor_b32_e32 v72, s15, v72
	v_cmp_gt_i32_e64 s15, 0, v4
	v_and_b32_e32 v1, exec_lo, v1
	v_not_b32_e32 v4, v6
	v_ashrrev_i32_e32 v3, 31, v3
	v_xor_b32_e32 v2, vcc_lo, v2
	v_cmp_gt_i32_e32 vcc_lo, 0, v6
	v_and_b32_e32 v1, v1, v72
	v_not_b32_e32 v6, v7
	v_ashrrev_i32_e32 v4, 31, v4
	v_xor_b32_e32 v3, s15, v3
	v_cmp_gt_i32_e64 s15, 0, v7
	v_and_b32_e32 v1, v1, v2
	v_not_b32_e32 v2, v71
	v_ashrrev_i32_e32 v6, 31, v6
	v_xor_b32_e32 v4, vcc_lo, v4
	v_cmp_gt_i32_e32 vcc_lo, 0, v71
	v_and_b32_e32 v1, v1, v3
	v_not_b32_e32 v3, v5
	v_ashrrev_i32_e32 v2, 31, v2
	v_xor_b32_e32 v6, s15, v6
	v_lshlrev_b32_e32 v0, 3, v0
	v_and_b32_e32 v1, v1, v4
	v_cmp_gt_i32_e64 s15, 0, v5
	v_ashrrev_i32_e32 v3, 31, v3
	v_xor_b32_e32 v2, vcc_lo, v2
	v_add_lshl_u32 v4, v0, v40, 2
	v_and_b32_e32 v1, v1, v6
	s_delay_alu instid0(VALU_DEP_4) | instskip(SKIP_3) | instid1(VALU_DEP_2)
	v_xor_b32_e32 v0, s15, v3
	ds_load_b32 v71, v4 offset:32
	v_and_b32_e32 v1, v1, v2
	v_add_nc_u32_e32 v73, 32, v4
	; wave barrier
	v_and_b32_e32 v0, v1, v0
	s_delay_alu instid0(VALU_DEP_1) | instskip(SKIP_1) | instid1(VALU_DEP_2)
	v_mbcnt_lo_u32_b32 v72, v0, 0
	v_cmp_ne_u32_e64 s15, 0, v0
	v_cmp_eq_u32_e32 vcc_lo, 0, v72
	s_delay_alu instid0(VALU_DEP_2) | instskip(NEXT) | instid1(SALU_CYCLE_1)
	s_and_b32 s23, s15, vcc_lo
	s_and_saveexec_b32 s15, s23
	s_cbranch_execz .LBB40_17
; %bb.16:                               ;   in Loop: Header=BB40_3 Depth=1
	s_waitcnt lgkmcnt(0)
	v_bcnt_u32_b32 v0, v0, v71
	ds_store_b32 v73, v0
.LBB40_17:                              ;   in Loop: Header=BB40_3 Depth=1
	s_or_b32 exec_lo, exec_lo, s15
	; wave barrier
	s_waitcnt lgkmcnt(0)
	s_barrier
	buffer_gl0_inv
	ds_load_2addr_b64 v[4:7], v19 offset0:4 offset1:5
	ds_load_2addr_b64 v[0:3], v37 offset0:2 offset1:3
	s_waitcnt lgkmcnt(1)
	v_add_nc_u32_e32 v74, v5, v4
	s_delay_alu instid0(VALU_DEP_1) | instskip(SKIP_1) | instid1(VALU_DEP_1)
	v_add3_u32 v74, v74, v6, v7
	s_waitcnt lgkmcnt(0)
	v_add3_u32 v74, v74, v0, v1
	s_delay_alu instid0(VALU_DEP_1) | instskip(NEXT) | instid1(VALU_DEP_1)
	v_add3_u32 v3, v74, v2, v3
	v_mov_b32_dpp v74, v3 row_shr:1 row_mask:0xf bank_mask:0xf
	s_delay_alu instid0(VALU_DEP_1) | instskip(NEXT) | instid1(VALU_DEP_1)
	v_cndmask_b32_e64 v74, v74, 0, s6
	v_add_nc_u32_e32 v3, v74, v3
	s_delay_alu instid0(VALU_DEP_1) | instskip(NEXT) | instid1(VALU_DEP_1)
	v_mov_b32_dpp v74, v3 row_shr:2 row_mask:0xf bank_mask:0xf
	v_cndmask_b32_e64 v74, 0, v74, s7
	s_delay_alu instid0(VALU_DEP_1) | instskip(NEXT) | instid1(VALU_DEP_1)
	v_add_nc_u32_e32 v3, v3, v74
	v_mov_b32_dpp v74, v3 row_shr:4 row_mask:0xf bank_mask:0xf
	s_delay_alu instid0(VALU_DEP_1) | instskip(NEXT) | instid1(VALU_DEP_1)
	v_cndmask_b32_e64 v74, 0, v74, s8
	v_add_nc_u32_e32 v3, v3, v74
	s_delay_alu instid0(VALU_DEP_1) | instskip(NEXT) | instid1(VALU_DEP_1)
	v_mov_b32_dpp v74, v3 row_shr:8 row_mask:0xf bank_mask:0xf
	v_cndmask_b32_e64 v74, 0, v74, s9
	s_delay_alu instid0(VALU_DEP_1) | instskip(SKIP_3) | instid1(VALU_DEP_1)
	v_add_nc_u32_e32 v3, v3, v74
	ds_swizzle_b32 v74, v3 offset:swizzle(BROADCAST,32,15)
	s_waitcnt lgkmcnt(0)
	v_cndmask_b32_e64 v74, v74, 0, s10
	v_add_nc_u32_e32 v3, v3, v74
	s_and_saveexec_b32 s15, s12
	s_cbranch_execz .LBB40_19
; %bb.18:                               ;   in Loop: Header=BB40_3 Depth=1
	ds_store_b32 v20, v3
.LBB40_19:                              ;   in Loop: Header=BB40_3 Depth=1
	s_or_b32 exec_lo, exec_lo, s15
	s_waitcnt lgkmcnt(0)
	s_barrier
	buffer_gl0_inv
	s_and_saveexec_b32 s15, s3
	s_cbranch_execz .LBB40_21
; %bb.20:                               ;   in Loop: Header=BB40_3 Depth=1
	ds_load_b32 v74, v43
	s_waitcnt lgkmcnt(0)
	v_mov_b32_dpp v75, v74 row_shr:1 row_mask:0xf bank_mask:0xf
	s_delay_alu instid0(VALU_DEP_1) | instskip(NEXT) | instid1(VALU_DEP_1)
	v_cndmask_b32_e64 v75, v75, 0, s11
	v_add_nc_u32_e32 v74, v75, v74
	s_delay_alu instid0(VALU_DEP_1) | instskip(NEXT) | instid1(VALU_DEP_1)
	v_mov_b32_dpp v75, v74 row_shr:2 row_mask:0xf bank_mask:0xf
	v_cndmask_b32_e64 v75, 0, v75, s13
	s_delay_alu instid0(VALU_DEP_1) | instskip(NEXT) | instid1(VALU_DEP_1)
	v_add_nc_u32_e32 v74, v74, v75
	v_mov_b32_dpp v75, v74 row_shr:4 row_mask:0xf bank_mask:0xf
	s_delay_alu instid0(VALU_DEP_1) | instskip(NEXT) | instid1(VALU_DEP_1)
	v_cndmask_b32_e64 v75, 0, v75, s14
	v_add_nc_u32_e32 v74, v74, v75
	ds_store_b32 v43, v74
.LBB40_21:                              ;   in Loop: Header=BB40_3 Depth=1
	s_or_b32 exec_lo, exec_lo, s15
	v_mov_b32_e32 v74, 0
	s_waitcnt lgkmcnt(0)
	s_barrier
	buffer_gl0_inv
	s_and_saveexec_b32 s15, s4
	s_cbranch_execz .LBB40_23
; %bb.22:                               ;   in Loop: Header=BB40_3 Depth=1
	ds_load_b32 v74, v41
.LBB40_23:                              ;   in Loop: Header=BB40_3 Depth=1
	s_or_b32 exec_lo, exec_lo, s15
	s_waitcnt lgkmcnt(0)
	v_add_nc_u32_e32 v3, v74, v3
	s_add_i32 s20, s20, 8
	s_delay_alu instid0(SALU_CYCLE_1) | instskip(SKIP_3) | instid1(VALU_DEP_1)
	s_cmp_ge_u32 s20, s21
	ds_bpermute_b32 v3, v38, v3
	s_waitcnt lgkmcnt(0)
	v_cndmask_b32_e64 v3, v3, v74, s2
	v_cndmask_b32_e64 v3, v3, 0, s5
	s_delay_alu instid0(VALU_DEP_1) | instskip(NEXT) | instid1(VALU_DEP_1)
	v_add_nc_u32_e32 v4, v3, v4
	v_add_nc_u32_e32 v5, v4, v5
	s_delay_alu instid0(VALU_DEP_1) | instskip(NEXT) | instid1(VALU_DEP_1)
	v_add_nc_u32_e32 v6, v5, v6
	v_add_nc_u32_e32 v74, v6, v7
	;; [unrolled: 3-line block ×3, first 2 shown]
	s_delay_alu instid0(VALU_DEP_1)
	v_add_nc_u32_e32 v1, v0, v2
	ds_store_2addr_b64 v19, v[3:4], v[5:6] offset0:4 offset1:5
	ds_store_2addr_b64 v37, v[74:75], v[0:1] offset0:2 offset1:3
	s_waitcnt lgkmcnt(0)
	s_barrier
	buffer_gl0_inv
	ds_load_b32 v0, v53
	ds_load_b32 v1, v57
	ds_load_b32 v2, v60
	ds_load_b32 v3, v64
	ds_load_b32 v4, v67
	ds_load_b32 v5, v70
	ds_load_b32 v64, v73
	v_mov_b32_e32 v60, v36
	v_perm_b32 v6, v45, v45, 0x3020104
	s_waitcnt lgkmcnt(0)
	v_add_nc_u32_e32 v7, v0, v52
	v_add3_u32 v52, v56, v55, v1
	v_add3_u32 v53, v59, v58, v2
	;; [unrolled: 1-line block ×6, first 2 shown]
	v_lshlrev_b32_e32 v59, 1, v7
	v_lshlrev_b32_e32 v62, 1, v52
	;; [unrolled: 1-line block ×7, first 2 shown]
	s_cbranch_scc0 .LBB40_2
; %bb.24:
                                        ; implicit-def: $vgpr2
                                        ; implicit-def: $vgpr1
                                        ; implicit-def: $vgpr0
                                        ; implicit-def: $vgpr36
                                        ; implicit-def: $vgpr5
                                        ; implicit-def: $vgpr4
                                        ; implicit-def: $vgpr3
                                        ; implicit-def: $vgpr45
                                        ; implicit-def: $sgpr22
.LBB40_25:
	s_barrier
	buffer_gl0_inv
	ds_store_b16 v59, v60
	ds_store_b16 v62, v51
	ds_store_b16 v63, v50
	ds_store_b16 v64, v54
	ds_store_b16 v65, v49
	ds_store_b16 v66, v61
	ds_store_b16 v67, v48
	s_waitcnt lgkmcnt(0)
	s_barrier
	buffer_gl0_inv
	ds_load_b96 v[0:2], v18
	ds_load_u16 v3, v18 offset:12
	v_add_nc_u32_e32 v36, 2, v17
	v_add_nc_u32_e32 v5, 4, v17
	;; [unrolled: 1-line block ×3, first 2 shown]
	v_lshrrev_b32_e32 v9, 8, v6
	v_lshrrev_b32_e32 v10, 24, v6
	s_mov_b32 s6, 0
	s_waitcnt lgkmcnt(0)
	s_barrier
	buffer_gl0_inv
	ds_store_b8 v7, v6
	ds_store_b8 v52, v9
	ds_store_b8_d16_hi v53, v6
	ds_store_b8 v55, v10
	ds_store_b8 v56, v47
	;; [unrolled: 1-line block ×4, first 2 shown]
	s_waitcnt lgkmcnt(0)
	s_barrier
	s_branch .LBB40_27
.LBB40_26:
                                        ; implicit-def: $vgpr3
                                        ; implicit-def: $vgpr2
                                        ; implicit-def: $vgpr4
                                        ; implicit-def: $vgpr5
                                        ; implicit-def: $vgpr36
.LBB40_27:
	v_add_co_u32 v11, s2, s16, v18
	s_delay_alu instid0(VALU_DEP_1) | instskip(SKIP_1) | instid1(VALU_DEP_1)
	v_add_co_ci_u32_e64 v12, null, s17, 0, s2
	v_add_co_u32 v9, s2, s18, v17
	v_add_co_ci_u32_e64 v10, null, s19, 0, s2
	s_and_b32 vcc_lo, exec_lo, s6
	s_cbranch_vccz .LBB40_69
; %bb.28:
	; wave barrier
	ds_load_u16 v36, v35
	ds_load_u16 v37, v35 offset:64
	ds_load_u16 v38, v35 offset:128
	ds_load_u16 v39, v35 offset:192
	ds_load_u16 v40, v35 offset:256
	ds_load_u16 v41, v35 offset:320
	ds_load_u16 v42, v35 offset:384
	s_waitcnt vmcnt(0) lgkmcnt(0)
	s_barrier
	buffer_gl0_inv
	ds_store_b8 v31, v13
	ds_store_b8 v31, v33 offset:1
	ds_store_b8 v31, v34 offset:2
	;; [unrolled: 1-line block ×6, first 2 shown]
	; wave barrier
	ds_load_u8 v34, v30
	ds_load_u8 v35, v30 offset:32
	ds_load_u8 v29, v30 offset:64
	;; [unrolled: 1-line block ×6, first 2 shown]
	s_waitcnt lgkmcnt(0)
	s_barrier
	buffer_gl0_inv
	s_load_b32 s1, s[0:1], 0x24
	v_and_b32_e32 v0, 0xff, v36
	s_delay_alu instid0(VALU_DEP_1) | instskip(NEXT) | instid1(VALU_DEP_1)
	v_and_b32_e32 v6, 0xffff, v0
	v_and_b32_e32 v0, 1, v6
	v_lshlrev_b32_e32 v1, 30, v6
	v_lshlrev_b32_e32 v3, 29, v6
	;; [unrolled: 1-line block ×3, first 2 shown]
	s_delay_alu instid0(VALU_DEP_4) | instskip(NEXT) | instid1(VALU_DEP_1)
	v_add_co_u32 v0, s2, v0, -1
	v_cndmask_b32_e64 v2, 0, 1, s2
	v_not_b32_e32 v4, v1
	v_cmp_gt_i32_e64 s0, 0, v1
	s_delay_alu instid0(VALU_DEP_3) | instskip(SKIP_1) | instid1(VALU_DEP_4)
	v_cmp_ne_u32_e32 vcc_lo, 0, v2
	v_lshlrev_b32_e32 v2, 28, v6
	v_ashrrev_i32_e32 v1, 31, v4
	v_not_b32_e32 v4, v3
	v_xor_b32_e32 v0, vcc_lo, v0
	v_cmp_gt_i32_e32 vcc_lo, 0, v3
	v_not_b32_e32 v3, v2
	v_xor_b32_e32 v1, s0, v1
	v_ashrrev_i32_e32 v4, 31, v4
	v_and_b32_e32 v0, exec_lo, v0
	v_cmp_gt_i32_e64 s0, 0, v2
	v_ashrrev_i32_e32 v2, 31, v3
	v_not_b32_e32 v3, v5
	s_delay_alu instid0(VALU_DEP_4) | instskip(SKIP_1) | instid1(VALU_DEP_4)
	v_and_b32_e32 v0, v0, v1
	v_xor_b32_e32 v1, vcc_lo, v4
	v_xor_b32_e32 v2, s0, v2
	v_lshlrev_b32_e32 v4, 26, v6
	v_cmp_gt_i32_e32 vcc_lo, 0, v5
	v_ashrrev_i32_e32 v3, 31, v3
	v_and_b32_e32 v0, v0, v1
	v_lshlrev_b32_e32 v5, 25, v6
	v_not_b32_e32 v1, v4
	s_waitcnt lgkmcnt(0)
	s_lshr_b32 s0, s1, 16
	v_xor_b32_e32 v3, vcc_lo, v3
	v_and_b32_e32 v0, v0, v2
	v_cmp_gt_i32_e32 vcc_lo, 0, v4
	v_ashrrev_i32_e32 v1, 31, v1
	v_not_b32_e32 v2, v5
	s_and_b32 s1, s1, 0xffff
	v_and_b32_e32 v0, v0, v3
	v_lshlrev_b32_e32 v3, 24, v6
	v_xor_b32_e32 v1, vcc_lo, v1
	v_cmp_gt_i32_e32 vcc_lo, 0, v5
	v_ashrrev_i32_e32 v2, 31, v2
	v_mad_u32_u24 v5, v27, s0, v26
	v_not_b32_e32 v4, v3
	v_and_b32_e32 v0, v0, v1
	s_mov_b32 s0, 0
	v_xor_b32_e32 v7, vcc_lo, v2
	v_cmp_gt_i32_e32 vcc_lo, 0, v3
	v_ashrrev_i32_e32 v3, 31, v4
	v_mad_u64_u32 v[1:2], null, v5, s1, v[8:9]
	s_delay_alu instid0(VALU_DEP_4) | instskip(SKIP_1) | instid1(VALU_DEP_3)
	v_and_b32_e32 v0, v0, v7
	s_mov_b32 s3, s0
	v_xor_b32_e32 v4, vcc_lo, v3
	s_mov_b32 s1, s0
	s_mov_b32 s2, s0
	v_mov_b32_e32 v3, s1
	s_delay_alu instid0(VALU_DEP_4) | instskip(SKIP_3) | instid1(VALU_DEP_3)
	v_lshrrev_b32_e32 v13, 5, v1
	v_dual_mov_b32 v5, s3 :: v_dual_and_b32 v0, v0, v4
	v_dual_mov_b32 v4, s2 :: v_dual_lshlrev_b32 v1, 3, v6
	v_mov_b32_e32 v2, s0
	v_mbcnt_lo_u32_b32 v26, v0, 0
	v_cmp_ne_u32_e64 s0, 0, v0
	ds_store_2addr_b64 v19, v[2:3], v[4:5] offset0:4 offset1:5
	ds_store_2addr_b64 v19, v[2:3], v[4:5] offset0:6 offset1:7
	v_cmp_eq_u32_e32 vcc_lo, 0, v26
	v_add_lshl_u32 v27, v1, v13, 2
	s_waitcnt lgkmcnt(0)
	s_barrier
	buffer_gl0_inv
	s_and_b32 s1, s0, vcc_lo
	; wave barrier
	s_delay_alu instid0(SALU_CYCLE_1)
	s_and_saveexec_b32 s0, s1
	s_cbranch_execz .LBB40_30
; %bb.29:
	v_bcnt_u32_b32 v0, v0, 0
	ds_store_b32 v27, v0 offset:32
.LBB40_30:
	s_or_b32 exec_lo, exec_lo, s0
	v_and_b32_e32 v0, 0xff, v37
	; wave barrier
	s_delay_alu instid0(VALU_DEP_1) | instskip(NEXT) | instid1(VALU_DEP_1)
	v_and_b32_e32 v0, 0xffff, v0
	v_and_b32_e32 v1, 1, v0
	v_lshlrev_b32_e32 v2, 30, v0
	v_lshlrev_b32_e32 v3, 29, v0
	;; [unrolled: 1-line block ×4, first 2 shown]
	v_add_co_u32 v1, s0, v1, -1
	s_delay_alu instid0(VALU_DEP_1)
	v_cndmask_b32_e64 v5, 0, 1, s0
	v_not_b32_e32 v30, v2
	v_cmp_gt_i32_e64 s0, 0, v2
	v_not_b32_e32 v2, v3
	v_lshlrev_b32_e32 v7, 26, v0
	v_cmp_ne_u32_e32 vcc_lo, 0, v5
	v_ashrrev_i32_e32 v30, 31, v30
	v_lshlrev_b32_e32 v15, 25, v0
	v_ashrrev_i32_e32 v2, 31, v2
	v_lshlrev_b32_e32 v5, 24, v0
	v_xor_b32_e32 v1, vcc_lo, v1
	v_cmp_gt_i32_e32 vcc_lo, 0, v3
	v_not_b32_e32 v3, v4
	v_xor_b32_e32 v30, s0, v30
	v_cmp_gt_i32_e64 s0, 0, v4
	v_and_b32_e32 v1, exec_lo, v1
	v_not_b32_e32 v4, v6
	v_ashrrev_i32_e32 v3, 31, v3
	v_xor_b32_e32 v2, vcc_lo, v2
	v_cmp_gt_i32_e32 vcc_lo, 0, v6
	v_and_b32_e32 v1, v1, v30
	v_not_b32_e32 v6, v7
	v_ashrrev_i32_e32 v4, 31, v4
	v_xor_b32_e32 v3, s0, v3
	v_cmp_gt_i32_e64 s0, 0, v7
	v_and_b32_e32 v1, v1, v2
	v_not_b32_e32 v2, v15
	v_ashrrev_i32_e32 v6, 31, v6
	v_xor_b32_e32 v4, vcc_lo, v4
	v_cmp_gt_i32_e32 vcc_lo, 0, v15
	v_and_b32_e32 v1, v1, v3
	v_not_b32_e32 v3, v5
	v_ashrrev_i32_e32 v2, 31, v2
	v_xor_b32_e32 v6, s0, v6
	v_lshlrev_b32_e32 v0, 3, v0
	v_and_b32_e32 v1, v1, v4
	v_cmp_gt_i32_e64 s0, 0, v5
	v_ashrrev_i32_e32 v3, 31, v3
	v_xor_b32_e32 v2, vcc_lo, v2
	v_add_lshl_u32 v44, v0, v13, 2
	v_and_b32_e32 v1, v1, v6
	s_delay_alu instid0(VALU_DEP_4) | instskip(SKIP_2) | instid1(VALU_DEP_1)
	v_xor_b32_e32 v0, s0, v3
	ds_load_b32 v30, v44 offset:32
	v_and_b32_e32 v1, v1, v2
	; wave barrier
	v_and_b32_e32 v0, v1, v0
	s_delay_alu instid0(VALU_DEP_1) | instskip(SKIP_1) | instid1(VALU_DEP_2)
	v_mbcnt_lo_u32_b32 v43, v0, 0
	v_cmp_ne_u32_e64 s0, 0, v0
	v_cmp_eq_u32_e32 vcc_lo, 0, v43
	s_delay_alu instid0(VALU_DEP_2) | instskip(NEXT) | instid1(SALU_CYCLE_1)
	s_and_b32 s1, s0, vcc_lo
	s_and_saveexec_b32 s0, s1
	s_cbranch_execz .LBB40_32
; %bb.31:
	s_waitcnt lgkmcnt(0)
	v_bcnt_u32_b32 v0, v0, v30
	ds_store_b32 v44, v0 offset:32
.LBB40_32:
	s_or_b32 exec_lo, exec_lo, s0
	v_and_b32_e32 v0, 0xff, v38
	; wave barrier
	s_delay_alu instid0(VALU_DEP_1) | instskip(NEXT) | instid1(VALU_DEP_1)
	v_and_b32_e32 v0, 0xffff, v0
	v_and_b32_e32 v1, 1, v0
	v_lshlrev_b32_e32 v2, 30, v0
	v_lshlrev_b32_e32 v3, 29, v0
	;; [unrolled: 1-line block ×4, first 2 shown]
	v_add_co_u32 v1, s0, v1, -1
	s_delay_alu instid0(VALU_DEP_1)
	v_cndmask_b32_e64 v5, 0, 1, s0
	v_not_b32_e32 v45, v2
	v_cmp_gt_i32_e64 s0, 0, v2
	v_not_b32_e32 v2, v3
	v_lshlrev_b32_e32 v7, 26, v0
	v_cmp_ne_u32_e32 vcc_lo, 0, v5
	v_ashrrev_i32_e32 v45, 31, v45
	v_lshlrev_b32_e32 v15, 25, v0
	v_ashrrev_i32_e32 v2, 31, v2
	v_lshlrev_b32_e32 v5, 24, v0
	v_xor_b32_e32 v1, vcc_lo, v1
	v_cmp_gt_i32_e32 vcc_lo, 0, v3
	v_not_b32_e32 v3, v4
	v_xor_b32_e32 v45, s0, v45
	v_cmp_gt_i32_e64 s0, 0, v4
	v_and_b32_e32 v1, exec_lo, v1
	v_not_b32_e32 v4, v6
	v_ashrrev_i32_e32 v3, 31, v3
	v_xor_b32_e32 v2, vcc_lo, v2
	v_cmp_gt_i32_e32 vcc_lo, 0, v6
	v_and_b32_e32 v1, v1, v45
	v_not_b32_e32 v6, v7
	v_ashrrev_i32_e32 v4, 31, v4
	v_xor_b32_e32 v3, s0, v3
	v_cmp_gt_i32_e64 s0, 0, v7
	v_and_b32_e32 v1, v1, v2
	v_not_b32_e32 v2, v15
	v_ashrrev_i32_e32 v6, 31, v6
	v_xor_b32_e32 v4, vcc_lo, v4
	v_cmp_gt_i32_e32 vcc_lo, 0, v15
	v_and_b32_e32 v1, v1, v3
	v_not_b32_e32 v3, v5
	v_ashrrev_i32_e32 v2, 31, v2
	v_xor_b32_e32 v6, s0, v6
	v_lshlrev_b32_e32 v0, 3, v0
	v_and_b32_e32 v1, v1, v4
	v_cmp_gt_i32_e64 s0, 0, v5
	v_ashrrev_i32_e32 v3, 31, v3
	v_xor_b32_e32 v2, vcc_lo, v2
	v_add_lshl_u32 v47, v0, v13, 2
	v_and_b32_e32 v1, v1, v6
	s_delay_alu instid0(VALU_DEP_4) | instskip(SKIP_2) | instid1(VALU_DEP_1)
	v_xor_b32_e32 v0, s0, v3
	ds_load_b32 v45, v47 offset:32
	v_and_b32_e32 v1, v1, v2
	; wave barrier
	v_and_b32_e32 v0, v1, v0
	s_delay_alu instid0(VALU_DEP_1) | instskip(SKIP_1) | instid1(VALU_DEP_2)
	v_mbcnt_lo_u32_b32 v46, v0, 0
	v_cmp_ne_u32_e64 s0, 0, v0
	v_cmp_eq_u32_e32 vcc_lo, 0, v46
	s_delay_alu instid0(VALU_DEP_2) | instskip(NEXT) | instid1(SALU_CYCLE_1)
	s_and_b32 s1, s0, vcc_lo
	s_and_saveexec_b32 s0, s1
	s_cbranch_execz .LBB40_34
; %bb.33:
	s_waitcnt lgkmcnt(0)
	v_bcnt_u32_b32 v0, v0, v45
	ds_store_b32 v47, v0 offset:32
.LBB40_34:
	s_or_b32 exec_lo, exec_lo, s0
	v_and_b32_e32 v0, 0xff, v39
	; wave barrier
	s_delay_alu instid0(VALU_DEP_1) | instskip(NEXT) | instid1(VALU_DEP_1)
	v_and_b32_e32 v0, 0xffff, v0
	v_and_b32_e32 v1, 1, v0
	v_lshlrev_b32_e32 v2, 30, v0
	v_lshlrev_b32_e32 v3, 29, v0
	;; [unrolled: 1-line block ×4, first 2 shown]
	v_add_co_u32 v1, s0, v1, -1
	s_delay_alu instid0(VALU_DEP_1)
	v_cndmask_b32_e64 v5, 0, 1, s0
	v_not_b32_e32 v48, v2
	v_cmp_gt_i32_e64 s0, 0, v2
	v_not_b32_e32 v2, v3
	v_lshlrev_b32_e32 v7, 26, v0
	v_cmp_ne_u32_e32 vcc_lo, 0, v5
	v_ashrrev_i32_e32 v48, 31, v48
	v_lshlrev_b32_e32 v15, 25, v0
	v_ashrrev_i32_e32 v2, 31, v2
	v_lshlrev_b32_e32 v5, 24, v0
	v_xor_b32_e32 v1, vcc_lo, v1
	v_cmp_gt_i32_e32 vcc_lo, 0, v3
	v_not_b32_e32 v3, v4
	v_xor_b32_e32 v48, s0, v48
	v_cmp_gt_i32_e64 s0, 0, v4
	v_and_b32_e32 v1, exec_lo, v1
	v_not_b32_e32 v4, v6
	v_ashrrev_i32_e32 v3, 31, v3
	v_xor_b32_e32 v2, vcc_lo, v2
	v_cmp_gt_i32_e32 vcc_lo, 0, v6
	v_and_b32_e32 v1, v1, v48
	v_not_b32_e32 v6, v7
	v_ashrrev_i32_e32 v4, 31, v4
	v_xor_b32_e32 v3, s0, v3
	v_cmp_gt_i32_e64 s0, 0, v7
	v_and_b32_e32 v1, v1, v2
	v_not_b32_e32 v2, v15
	v_ashrrev_i32_e32 v6, 31, v6
	v_xor_b32_e32 v4, vcc_lo, v4
	v_cmp_gt_i32_e32 vcc_lo, 0, v15
	v_and_b32_e32 v1, v1, v3
	v_not_b32_e32 v3, v5
	v_ashrrev_i32_e32 v2, 31, v2
	v_xor_b32_e32 v6, s0, v6
	v_lshlrev_b32_e32 v0, 3, v0
	v_and_b32_e32 v1, v1, v4
	v_cmp_gt_i32_e64 s0, 0, v5
	v_ashrrev_i32_e32 v3, 31, v3
	v_xor_b32_e32 v2, vcc_lo, v2
	v_add_lshl_u32 v50, v0, v13, 2
	v_and_b32_e32 v1, v1, v6
	s_delay_alu instid0(VALU_DEP_4) | instskip(SKIP_2) | instid1(VALU_DEP_1)
	v_xor_b32_e32 v0, s0, v3
	ds_load_b32 v48, v50 offset:32
	v_and_b32_e32 v1, v1, v2
	; wave barrier
	v_and_b32_e32 v0, v1, v0
	s_delay_alu instid0(VALU_DEP_1) | instskip(SKIP_1) | instid1(VALU_DEP_2)
	v_mbcnt_lo_u32_b32 v49, v0, 0
	v_cmp_ne_u32_e64 s0, 0, v0
	v_cmp_eq_u32_e32 vcc_lo, 0, v49
	s_delay_alu instid0(VALU_DEP_2) | instskip(NEXT) | instid1(SALU_CYCLE_1)
	s_and_b32 s1, s0, vcc_lo
	s_and_saveexec_b32 s0, s1
	s_cbranch_execz .LBB40_36
; %bb.35:
	s_waitcnt lgkmcnt(0)
	v_bcnt_u32_b32 v0, v0, v48
	ds_store_b32 v50, v0 offset:32
.LBB40_36:
	s_or_b32 exec_lo, exec_lo, s0
	v_and_b32_e32 v0, 0xff, v40
	; wave barrier
	s_delay_alu instid0(VALU_DEP_1) | instskip(NEXT) | instid1(VALU_DEP_1)
	v_and_b32_e32 v0, 0xffff, v0
	v_and_b32_e32 v1, 1, v0
	v_lshlrev_b32_e32 v2, 30, v0
	v_lshlrev_b32_e32 v3, 29, v0
	;; [unrolled: 1-line block ×4, first 2 shown]
	v_add_co_u32 v1, s0, v1, -1
	s_delay_alu instid0(VALU_DEP_1)
	v_cndmask_b32_e64 v5, 0, 1, s0
	v_not_b32_e32 v51, v2
	v_cmp_gt_i32_e64 s0, 0, v2
	v_not_b32_e32 v2, v3
	v_lshlrev_b32_e32 v7, 26, v0
	v_cmp_ne_u32_e32 vcc_lo, 0, v5
	v_ashrrev_i32_e32 v51, 31, v51
	v_lshlrev_b32_e32 v15, 25, v0
	v_ashrrev_i32_e32 v2, 31, v2
	v_lshlrev_b32_e32 v5, 24, v0
	v_xor_b32_e32 v1, vcc_lo, v1
	v_cmp_gt_i32_e32 vcc_lo, 0, v3
	v_not_b32_e32 v3, v4
	v_xor_b32_e32 v51, s0, v51
	v_cmp_gt_i32_e64 s0, 0, v4
	v_and_b32_e32 v1, exec_lo, v1
	v_not_b32_e32 v4, v6
	v_ashrrev_i32_e32 v3, 31, v3
	v_xor_b32_e32 v2, vcc_lo, v2
	v_cmp_gt_i32_e32 vcc_lo, 0, v6
	v_and_b32_e32 v1, v1, v51
	v_not_b32_e32 v6, v7
	v_ashrrev_i32_e32 v4, 31, v4
	v_xor_b32_e32 v3, s0, v3
	v_cmp_gt_i32_e64 s0, 0, v7
	v_and_b32_e32 v1, v1, v2
	v_not_b32_e32 v2, v15
	v_ashrrev_i32_e32 v6, 31, v6
	v_xor_b32_e32 v4, vcc_lo, v4
	v_cmp_gt_i32_e32 vcc_lo, 0, v15
	v_and_b32_e32 v1, v1, v3
	v_not_b32_e32 v3, v5
	v_ashrrev_i32_e32 v2, 31, v2
	v_xor_b32_e32 v6, s0, v6
	v_lshlrev_b32_e32 v0, 3, v0
	v_and_b32_e32 v1, v1, v4
	v_cmp_gt_i32_e64 s0, 0, v5
	v_ashrrev_i32_e32 v3, 31, v3
	v_xor_b32_e32 v2, vcc_lo, v2
	v_add_lshl_u32 v53, v0, v13, 2
	v_and_b32_e32 v1, v1, v6
	s_delay_alu instid0(VALU_DEP_4) | instskip(SKIP_2) | instid1(VALU_DEP_1)
	v_xor_b32_e32 v0, s0, v3
	ds_load_b32 v51, v53 offset:32
	v_and_b32_e32 v1, v1, v2
	; wave barrier
	v_and_b32_e32 v0, v1, v0
	s_delay_alu instid0(VALU_DEP_1) | instskip(SKIP_1) | instid1(VALU_DEP_2)
	v_mbcnt_lo_u32_b32 v52, v0, 0
	v_cmp_ne_u32_e64 s0, 0, v0
	v_cmp_eq_u32_e32 vcc_lo, 0, v52
	s_delay_alu instid0(VALU_DEP_2) | instskip(NEXT) | instid1(SALU_CYCLE_1)
	s_and_b32 s1, s0, vcc_lo
	s_and_saveexec_b32 s0, s1
	s_cbranch_execz .LBB40_38
; %bb.37:
	s_waitcnt lgkmcnt(0)
	v_bcnt_u32_b32 v0, v0, v51
	ds_store_b32 v53, v0 offset:32
.LBB40_38:
	s_or_b32 exec_lo, exec_lo, s0
	v_and_b32_e32 v0, 0xff, v41
	; wave barrier
	s_delay_alu instid0(VALU_DEP_1) | instskip(NEXT) | instid1(VALU_DEP_1)
	v_and_b32_e32 v0, 0xffff, v0
	v_and_b32_e32 v1, 1, v0
	v_lshlrev_b32_e32 v2, 30, v0
	v_lshlrev_b32_e32 v3, 29, v0
	;; [unrolled: 1-line block ×4, first 2 shown]
	v_add_co_u32 v1, s0, v1, -1
	s_delay_alu instid0(VALU_DEP_1)
	v_cndmask_b32_e64 v5, 0, 1, s0
	v_not_b32_e32 v54, v2
	v_cmp_gt_i32_e64 s0, 0, v2
	v_not_b32_e32 v2, v3
	v_lshlrev_b32_e32 v7, 26, v0
	v_cmp_ne_u32_e32 vcc_lo, 0, v5
	v_ashrrev_i32_e32 v54, 31, v54
	v_lshlrev_b32_e32 v15, 25, v0
	v_ashrrev_i32_e32 v2, 31, v2
	v_lshlrev_b32_e32 v5, 24, v0
	v_xor_b32_e32 v1, vcc_lo, v1
	v_cmp_gt_i32_e32 vcc_lo, 0, v3
	v_not_b32_e32 v3, v4
	v_xor_b32_e32 v54, s0, v54
	v_cmp_gt_i32_e64 s0, 0, v4
	v_and_b32_e32 v1, exec_lo, v1
	v_not_b32_e32 v4, v6
	v_ashrrev_i32_e32 v3, 31, v3
	v_xor_b32_e32 v2, vcc_lo, v2
	v_cmp_gt_i32_e32 vcc_lo, 0, v6
	v_and_b32_e32 v1, v1, v54
	v_not_b32_e32 v6, v7
	v_ashrrev_i32_e32 v4, 31, v4
	v_xor_b32_e32 v3, s0, v3
	v_cmp_gt_i32_e64 s0, 0, v7
	v_and_b32_e32 v1, v1, v2
	v_not_b32_e32 v2, v15
	v_ashrrev_i32_e32 v6, 31, v6
	v_xor_b32_e32 v4, vcc_lo, v4
	v_cmp_gt_i32_e32 vcc_lo, 0, v15
	v_and_b32_e32 v1, v1, v3
	v_not_b32_e32 v3, v5
	v_ashrrev_i32_e32 v2, 31, v2
	v_xor_b32_e32 v6, s0, v6
	v_lshlrev_b32_e32 v0, 3, v0
	v_and_b32_e32 v1, v1, v4
	v_cmp_gt_i32_e64 s0, 0, v5
	v_ashrrev_i32_e32 v3, 31, v3
	v_xor_b32_e32 v2, vcc_lo, v2
	v_add_lshl_u32 v56, v0, v13, 2
	v_and_b32_e32 v1, v1, v6
	s_delay_alu instid0(VALU_DEP_4) | instskip(SKIP_2) | instid1(VALU_DEP_1)
	v_xor_b32_e32 v0, s0, v3
	ds_load_b32 v54, v56 offset:32
	v_and_b32_e32 v1, v1, v2
	; wave barrier
	v_and_b32_e32 v0, v1, v0
	s_delay_alu instid0(VALU_DEP_1) | instskip(SKIP_1) | instid1(VALU_DEP_2)
	v_mbcnt_lo_u32_b32 v55, v0, 0
	v_cmp_ne_u32_e64 s0, 0, v0
	v_cmp_eq_u32_e32 vcc_lo, 0, v55
	s_delay_alu instid0(VALU_DEP_2) | instskip(NEXT) | instid1(SALU_CYCLE_1)
	s_and_b32 s1, s0, vcc_lo
	s_and_saveexec_b32 s0, s1
	s_cbranch_execz .LBB40_40
; %bb.39:
	s_waitcnt lgkmcnt(0)
	v_bcnt_u32_b32 v0, v0, v54
	ds_store_b32 v56, v0 offset:32
.LBB40_40:
	s_or_b32 exec_lo, exec_lo, s0
	v_and_b32_e32 v0, 0xff, v42
	; wave barrier
	v_min_u32_e32 v60, 0xe0, v23
	s_delay_alu instid0(VALU_DEP_2) | instskip(NEXT) | instid1(VALU_DEP_1)
	v_and_b32_e32 v0, 0xffff, v0
	v_and_b32_e32 v1, 1, v0
	v_lshlrev_b32_e32 v2, 30, v0
	v_lshlrev_b32_e32 v3, 29, v0
	v_lshlrev_b32_e32 v4, 28, v0
	v_lshlrev_b32_e32 v6, 27, v0
	v_add_co_u32 v1, s0, v1, -1
	s_delay_alu instid0(VALU_DEP_1)
	v_cndmask_b32_e64 v5, 0, 1, s0
	v_not_b32_e32 v57, v2
	v_cmp_gt_i32_e64 s0, 0, v2
	v_not_b32_e32 v2, v3
	v_lshlrev_b32_e32 v7, 26, v0
	v_cmp_ne_u32_e32 vcc_lo, 0, v5
	v_ashrrev_i32_e32 v57, 31, v57
	v_lshlrev_b32_e32 v15, 25, v0
	v_ashrrev_i32_e32 v2, 31, v2
	v_lshlrev_b32_e32 v5, 24, v0
	v_xor_b32_e32 v1, vcc_lo, v1
	v_cmp_gt_i32_e32 vcc_lo, 0, v3
	v_not_b32_e32 v3, v4
	v_xor_b32_e32 v57, s0, v57
	v_cmp_gt_i32_e64 s0, 0, v4
	v_and_b32_e32 v1, exec_lo, v1
	v_not_b32_e32 v4, v6
	v_ashrrev_i32_e32 v3, 31, v3
	v_xor_b32_e32 v2, vcc_lo, v2
	v_cmp_gt_i32_e32 vcc_lo, 0, v6
	v_and_b32_e32 v1, v1, v57
	v_not_b32_e32 v6, v7
	v_ashrrev_i32_e32 v4, 31, v4
	v_xor_b32_e32 v3, s0, v3
	v_cmp_gt_i32_e64 s0, 0, v7
	v_and_b32_e32 v1, v1, v2
	v_not_b32_e32 v2, v15
	v_ashrrev_i32_e32 v6, 31, v6
	v_xor_b32_e32 v4, vcc_lo, v4
	v_cmp_gt_i32_e32 vcc_lo, 0, v15
	v_and_b32_e32 v1, v1, v3
	v_not_b32_e32 v3, v5
	v_ashrrev_i32_e32 v2, 31, v2
	v_xor_b32_e32 v6, s0, v6
	v_lshlrev_b32_e32 v0, 3, v0
	v_and_b32_e32 v1, v1, v4
	v_cmp_gt_i32_e64 s0, 0, v5
	v_ashrrev_i32_e32 v3, 31, v3
	v_xor_b32_e32 v2, vcc_lo, v2
	v_add_lshl_u32 v59, v0, v13, 2
	v_and_b32_e32 v1, v1, v6
	v_add_nc_u32_e32 v15, 32, v19
	v_xor_b32_e32 v0, s0, v3
	ds_load_b32 v57, v59 offset:32
	v_and_b32_e32 v1, v1, v2
	; wave barrier
	s_delay_alu instid0(VALU_DEP_1) | instskip(NEXT) | instid1(VALU_DEP_1)
	v_and_b32_e32 v0, v1, v0
	v_mbcnt_lo_u32_b32 v58, v0, 0
	v_cmp_ne_u32_e64 s0, 0, v0
	s_delay_alu instid0(VALU_DEP_2) | instskip(NEXT) | instid1(VALU_DEP_2)
	v_cmp_eq_u32_e32 vcc_lo, 0, v58
	s_and_b32 s1, s0, vcc_lo
	s_delay_alu instid0(SALU_CYCLE_1)
	s_and_saveexec_b32 s0, s1
	s_cbranch_execz .LBB40_42
; %bb.41:
	s_waitcnt lgkmcnt(0)
	v_bcnt_u32_b32 v0, v0, v57
	ds_store_b32 v59, v0 offset:32
.LBB40_42:
	s_or_b32 exec_lo, exec_lo, s0
	; wave barrier
	s_waitcnt lgkmcnt(0)
	s_barrier
	buffer_gl0_inv
	ds_load_2addr_b64 v[4:7], v19 offset0:4 offset1:5
	ds_load_2addr_b64 v[0:3], v15 offset0:2 offset1:3
	v_cmp_eq_u32_e64 s2, 0, v25
	v_cmp_lt_u32_e64 s3, 1, v25
	v_cmp_lt_u32_e64 s4, 3, v25
	;; [unrolled: 1-line block ×3, first 2 shown]
	v_or_b32_e32 v60, 31, v60
	v_cmp_eq_u32_e64 s8, 0, v24
	s_delay_alu instid0(VALU_DEP_2) | instskip(SKIP_2) | instid1(VALU_DEP_1)
	v_cmp_eq_u32_e64 s7, v60, v8
	s_waitcnt lgkmcnt(1)
	v_add_nc_u32_e32 v61, v5, v4
	v_add3_u32 v61, v61, v6, v7
	s_waitcnt lgkmcnt(0)
	s_delay_alu instid0(VALU_DEP_1) | instskip(NEXT) | instid1(VALU_DEP_1)
	v_add3_u32 v61, v61, v0, v1
	v_add3_u32 v3, v61, v2, v3
	s_delay_alu instid0(VALU_DEP_1) | instskip(NEXT) | instid1(VALU_DEP_1)
	v_mov_b32_dpp v61, v3 row_shr:1 row_mask:0xf bank_mask:0xf
	v_cndmask_b32_e64 v61, v61, 0, s2
	s_delay_alu instid0(VALU_DEP_1) | instskip(NEXT) | instid1(VALU_DEP_1)
	v_add_nc_u32_e32 v3, v61, v3
	v_mov_b32_dpp v61, v3 row_shr:2 row_mask:0xf bank_mask:0xf
	s_delay_alu instid0(VALU_DEP_1) | instskip(NEXT) | instid1(VALU_DEP_1)
	v_cndmask_b32_e64 v61, 0, v61, s3
	v_add_nc_u32_e32 v3, v3, v61
	s_delay_alu instid0(VALU_DEP_1) | instskip(NEXT) | instid1(VALU_DEP_1)
	v_mov_b32_dpp v61, v3 row_shr:4 row_mask:0xf bank_mask:0xf
	v_cndmask_b32_e64 v61, 0, v61, s4
	s_delay_alu instid0(VALU_DEP_1) | instskip(NEXT) | instid1(VALU_DEP_1)
	v_add_nc_u32_e32 v3, v3, v61
	v_mov_b32_dpp v61, v3 row_shr:8 row_mask:0xf bank_mask:0xf
	s_delay_alu instid0(VALU_DEP_1) | instskip(SKIP_1) | instid1(VALU_DEP_2)
	v_cndmask_b32_e64 v25, 0, v61, s5
	v_bfe_i32 v61, v21, 4, 1
	v_add_nc_u32_e32 v3, v3, v25
	ds_swizzle_b32 v25, v3 offset:swizzle(BROADCAST,32,15)
	s_waitcnt lgkmcnt(0)
	v_and_b32_e32 v25, v61, v25
	s_delay_alu instid0(VALU_DEP_1)
	v_add_nc_u32_e32 v24, v3, v25
	s_and_saveexec_b32 s0, s7
	s_cbranch_execz .LBB40_44
; %bb.43:
	ds_store_b32 v20, v24
.LBB40_44:
	s_or_b32 exec_lo, exec_lo, s0
	v_cmp_gt_u32_e64 s6, 8, v8
	v_cmp_eq_u32_e64 s1, 0, v16
	v_cmp_lt_u32_e64 s0, 1, v16
	v_cmp_lt_u32_e32 vcc_lo, 3, v16
	v_add_nc_u32_e32 v14, v19, v14
	s_waitcnt lgkmcnt(0)
	s_barrier
	buffer_gl0_inv
	s_and_saveexec_b32 s9, s6
	s_cbranch_execz .LBB40_46
; %bb.45:
	ds_load_b32 v3, v14
	s_waitcnt lgkmcnt(0)
	v_mov_b32_dpp v16, v3 row_shr:1 row_mask:0xf bank_mask:0xf
	s_delay_alu instid0(VALU_DEP_1) | instskip(NEXT) | instid1(VALU_DEP_1)
	v_cndmask_b32_e64 v16, v16, 0, s1
	v_add_nc_u32_e32 v3, v16, v3
	s_delay_alu instid0(VALU_DEP_1) | instskip(NEXT) | instid1(VALU_DEP_1)
	v_mov_b32_dpp v16, v3 row_shr:2 row_mask:0xf bank_mask:0xf
	v_cndmask_b32_e64 v16, 0, v16, s0
	s_delay_alu instid0(VALU_DEP_1) | instskip(NEXT) | instid1(VALU_DEP_1)
	v_add_nc_u32_e32 v3, v3, v16
	v_mov_b32_dpp v16, v3 row_shr:4 row_mask:0xf bank_mask:0xf
	s_delay_alu instid0(VALU_DEP_1) | instskip(NEXT) | instid1(VALU_DEP_1)
	v_cndmask_b32_e32 v16, 0, v16, vcc_lo
	v_add_nc_u32_e32 v3, v3, v16
	ds_store_b32 v14, v3
.LBB40_46:
	s_or_b32 exec_lo, exec_lo, s9
	v_mul_u32_u24_e32 v3, 7, v23
	v_cmp_lt_u32_e64 s9, 31, v8
	v_dual_mov_b32 v23, 0 :: v_dual_add_nc_u32 v16, -4, v20
	s_waitcnt lgkmcnt(0)
	s_barrier
	buffer_gl0_inv
	s_and_saveexec_b32 s10, s9
	s_cbranch_execz .LBB40_48
; %bb.47:
	ds_load_b32 v23, v16
.LBB40_48:
	s_or_b32 exec_lo, exec_lo, s10
	v_cmp_gt_i32_e64 s10, 0, v22
	s_mov_b32 s14, 0
	v_cmp_eq_u32_e64 s11, 0, v8
	s_mov_b32 s15, s14
	s_waitcnt lgkmcnt(0)
	v_add_nc_u32_e32 v24, v23, v24
	v_cndmask_b32_e64 v22, v22, v21, s10
	s_mov_b32 s16, s14
	s_mov_b32 s17, s14
	v_cmp_eq_u32_e64 s10, 0, v21
	v_add_nc_u32_e32 v3, v21, v3
	v_lshlrev_b32_e32 v22, 2, v22
	ds_bpermute_b32 v24, v22, v24
	s_waitcnt lgkmcnt(0)
	v_cndmask_b32_e64 v23, v24, v23, s10
	s_delay_alu instid0(VALU_DEP_1) | instskip(NEXT) | instid1(VALU_DEP_1)
	v_cndmask_b32_e64 v23, v23, 0, s11
	v_add_nc_u32_e32 v24, v23, v4
	s_delay_alu instid0(VALU_DEP_1) | instskip(NEXT) | instid1(VALU_DEP_1)
	v_add_nc_u32_e32 v4, v24, v5
	v_add_nc_u32_e32 v5, v4, v6
	s_delay_alu instid0(VALU_DEP_1) | instskip(NEXT) | instid1(VALU_DEP_1)
	v_add_nc_u32_e32 v6, v5, v7
	;; [unrolled: 3-line block ×3, first 2 shown]
	v_add_nc_u32_e32 v1, v0, v2
	ds_store_2addr_b64 v19, v[23:24], v[4:5] offset0:4 offset1:5
	ds_store_2addr_b64 v15, v[6:7], v[0:1] offset0:2 offset1:3
	s_waitcnt lgkmcnt(0)
	s_barrier
	buffer_gl0_inv
	ds_load_b32 v0, v27 offset:32
	ds_load_b32 v1, v44 offset:32
	;; [unrolled: 1-line block ×7, first 2 shown]
	v_lshlrev_b32_e32 v27, 1, v3
	s_waitcnt lgkmcnt(0)
	s_barrier
	buffer_gl0_inv
	v_add_nc_u32_e32 v0, v0, v26
	v_add3_u32 v1, v43, v30, v1
	v_add3_u32 v2, v46, v45, v2
	;; [unrolled: 1-line block ×6, first 2 shown]
	v_lshlrev_b32_e32 v8, 1, v0
	v_lshlrev_b32_e32 v21, 1, v1
	;; [unrolled: 1-line block ×7, first 2 shown]
	ds_store_b16 v8, v36
	ds_store_b16 v21, v37
	;; [unrolled: 1-line block ×7, first 2 shown]
	s_waitcnt lgkmcnt(0)
	s_barrier
	buffer_gl0_inv
	ds_load_u16 v8, v27
	ds_load_u16 v21, v27 offset:64
	ds_load_u16 v23, v27 offset:128
	ds_load_u16 v24, v27 offset:192
	ds_load_u16 v25, v27 offset:256
	ds_load_u16 v26, v27 offset:320
	ds_load_u16 v27, v27 offset:384
	s_waitcnt lgkmcnt(0)
	s_barrier
	buffer_gl0_inv
	ds_store_b8 v0, v34
	ds_store_b8 v1, v35
	;; [unrolled: 1-line block ×7, first 2 shown]
	s_waitcnt lgkmcnt(0)
	s_barrier
	buffer_gl0_inv
	v_lshrrev_b16 v30, 8, v8
	s_delay_alu instid0(VALU_DEP_1) | instskip(NEXT) | instid1(VALU_DEP_1)
	v_and_b32_e32 v36, 0xffff, v30
	v_and_b32_e32 v0, 1, v36
	v_lshlrev_b32_e32 v1, 30, v36
	v_lshlrev_b32_e32 v2, 29, v36
	;; [unrolled: 1-line block ×4, first 2 shown]
	v_add_co_u32 v0, s12, v0, -1
	s_delay_alu instid0(VALU_DEP_1)
	v_cndmask_b32_e64 v5, 0, 1, s12
	v_not_b32_e32 v31, v1
	v_cmp_gt_i32_e64 s13, 0, v1
	v_not_b32_e32 v1, v2
	v_lshlrev_b32_e32 v29, 26, v36
	v_cmp_ne_u32_e64 s12, 0, v5
	v_ashrrev_i32_e32 v31, 31, v31
	v_lshlrev_b32_e32 v30, 25, v36
	v_ashrrev_i32_e32 v1, 31, v1
	v_lshlrev_b32_e32 v5, 24, v36
	v_xor_b32_e32 v0, s12, v0
	v_cmp_gt_i32_e64 s12, 0, v2
	v_not_b32_e32 v2, v4
	v_xor_b32_e32 v31, s13, v31
	v_cmp_gt_i32_e64 s13, 0, v4
	v_and_b32_e32 v0, exec_lo, v0
	v_not_b32_e32 v4, v6
	v_ashrrev_i32_e32 v2, 31, v2
	v_xor_b32_e32 v1, s12, v1
	v_cmp_gt_i32_e64 s12, 0, v6
	v_and_b32_e32 v0, v0, v31
	v_not_b32_e32 v6, v29
	v_ashrrev_i32_e32 v4, 31, v4
	v_xor_b32_e32 v2, s13, v2
	v_cmp_gt_i32_e64 s13, 0, v29
	v_and_b32_e32 v0, v0, v1
	;; [unrolled: 5-line block ×4, first 2 shown]
	v_ashrrev_i32_e32 v2, 31, v2
	v_xor_b32_e32 v1, s12, v1
	ds_load_u8 v28, v3
	ds_load_u8 v29, v3 offset:32
	ds_load_u8 v30, v3 offset:64
	;; [unrolled: 1-line block ×6, first 2 shown]
	s_waitcnt lgkmcnt(0)
	v_and_b32_e32 v0, v0, v6
	v_xor_b32_e32 v4, s13, v2
	s_barrier
	buffer_gl0_inv
	v_dual_mov_b32 v1, s14 :: v_dual_and_b32 v0, v0, v1
	v_mov_b32_e32 v2, s15
	s_delay_alu instid0(VALU_DEP_2)
	v_dual_mov_b32 v3, s16 :: v_dual_and_b32 v0, v0, v4
	v_mov_b32_e32 v4, s17
	ds_store_2addr_b64 v19, v[1:2], v[3:4] offset0:4 offset1:5
	ds_store_2addr_b64 v15, v[1:2], v[3:4] offset0:2 offset1:3
	v_mbcnt_lo_u32_b32 v35, v0, 0
	v_lshlrev_b32_e32 v1, 3, v36
	v_cmp_ne_u32_e64 s13, 0, v0
	s_waitcnt lgkmcnt(0)
	s_barrier
	v_cmp_eq_u32_e64 s12, 0, v35
	v_add_lshl_u32 v36, v1, v13, 2
	buffer_gl0_inv
	; wave barrier
	s_and_b32 s13, s13, s12
	s_delay_alu instid0(SALU_CYCLE_1)
	s_and_saveexec_b32 s12, s13
	s_cbranch_execz .LBB40_50
; %bb.49:
	v_bcnt_u32_b32 v0, v0, 0
	ds_store_b32 v36, v0 offset:32
.LBB40_50:
	s_or_b32 exec_lo, exec_lo, s12
	v_lshrrev_b16 v0, 8, v21
	; wave barrier
	s_delay_alu instid0(VALU_DEP_1) | instskip(NEXT) | instid1(VALU_DEP_1)
	v_and_b32_e32 v0, 0xffff, v0
	v_and_b32_e32 v1, 1, v0
	v_lshlrev_b32_e32 v2, 30, v0
	v_lshlrev_b32_e32 v3, 29, v0
	v_lshlrev_b32_e32 v4, 28, v0
	v_lshlrev_b32_e32 v6, 27, v0
	v_add_co_u32 v1, s12, v1, -1
	s_delay_alu instid0(VALU_DEP_1)
	v_cndmask_b32_e64 v5, 0, 1, s12
	v_not_b32_e32 v38, v2
	v_cmp_gt_i32_e64 s13, 0, v2
	v_not_b32_e32 v2, v3
	v_lshlrev_b32_e32 v7, 26, v0
	v_cmp_ne_u32_e64 s12, 0, v5
	v_ashrrev_i32_e32 v38, 31, v38
	v_lshlrev_b32_e32 v37, 25, v0
	v_ashrrev_i32_e32 v2, 31, v2
	v_lshlrev_b32_e32 v5, 24, v0
	v_xor_b32_e32 v1, s12, v1
	v_cmp_gt_i32_e64 s12, 0, v3
	v_not_b32_e32 v3, v4
	v_xor_b32_e32 v38, s13, v38
	v_cmp_gt_i32_e64 s13, 0, v4
	v_and_b32_e32 v1, exec_lo, v1
	v_not_b32_e32 v4, v6
	v_ashrrev_i32_e32 v3, 31, v3
	v_xor_b32_e32 v2, s12, v2
	v_cmp_gt_i32_e64 s12, 0, v6
	v_and_b32_e32 v1, v1, v38
	v_not_b32_e32 v6, v7
	v_ashrrev_i32_e32 v4, 31, v4
	v_xor_b32_e32 v3, s13, v3
	v_cmp_gt_i32_e64 s13, 0, v7
	v_and_b32_e32 v1, v1, v2
	;; [unrolled: 5-line block ×3, first 2 shown]
	v_not_b32_e32 v3, v5
	v_ashrrev_i32_e32 v2, 31, v2
	v_xor_b32_e32 v6, s13, v6
	v_lshlrev_b32_e32 v0, 3, v0
	v_and_b32_e32 v1, v1, v4
	v_cmp_gt_i32_e64 s13, 0, v5
	v_ashrrev_i32_e32 v3, 31, v3
	v_xor_b32_e32 v2, s12, v2
	v_add_lshl_u32 v38, v0, v13, 2
	v_and_b32_e32 v1, v1, v6
	s_delay_alu instid0(VALU_DEP_4) | instskip(SKIP_2) | instid1(VALU_DEP_1)
	v_xor_b32_e32 v0, s13, v3
	ds_load_b32 v37, v38 offset:32
	v_and_b32_e32 v1, v1, v2
	; wave barrier
	v_and_b32_e32 v0, v1, v0
	s_delay_alu instid0(VALU_DEP_1) | instskip(SKIP_1) | instid1(VALU_DEP_2)
	v_mbcnt_lo_u32_b32 v39, v0, 0
	v_cmp_ne_u32_e64 s13, 0, v0
	v_cmp_eq_u32_e64 s12, 0, v39
	s_delay_alu instid0(VALU_DEP_1) | instskip(NEXT) | instid1(SALU_CYCLE_1)
	s_and_b32 s13, s13, s12
	s_and_saveexec_b32 s12, s13
	s_cbranch_execz .LBB40_52
; %bb.51:
	s_waitcnt lgkmcnt(0)
	v_bcnt_u32_b32 v0, v0, v37
	ds_store_b32 v38, v0 offset:32
.LBB40_52:
	s_or_b32 exec_lo, exec_lo, s12
	v_lshrrev_b16 v0, 8, v23
	; wave barrier
	s_delay_alu instid0(VALU_DEP_1) | instskip(NEXT) | instid1(VALU_DEP_1)
	v_and_b32_e32 v0, 0xffff, v0
	v_and_b32_e32 v1, 1, v0
	v_lshlrev_b32_e32 v2, 30, v0
	v_lshlrev_b32_e32 v3, 29, v0
	v_lshlrev_b32_e32 v4, 28, v0
	v_lshlrev_b32_e32 v6, 27, v0
	v_add_co_u32 v1, s12, v1, -1
	s_delay_alu instid0(VALU_DEP_1)
	v_cndmask_b32_e64 v5, 0, 1, s12
	v_not_b32_e32 v41, v2
	v_cmp_gt_i32_e64 s13, 0, v2
	v_not_b32_e32 v2, v3
	v_lshlrev_b32_e32 v7, 26, v0
	v_cmp_ne_u32_e64 s12, 0, v5
	v_ashrrev_i32_e32 v41, 31, v41
	v_lshlrev_b32_e32 v40, 25, v0
	v_ashrrev_i32_e32 v2, 31, v2
	v_lshlrev_b32_e32 v5, 24, v0
	v_xor_b32_e32 v1, s12, v1
	v_cmp_gt_i32_e64 s12, 0, v3
	v_not_b32_e32 v3, v4
	v_xor_b32_e32 v41, s13, v41
	v_cmp_gt_i32_e64 s13, 0, v4
	v_and_b32_e32 v1, exec_lo, v1
	v_not_b32_e32 v4, v6
	v_ashrrev_i32_e32 v3, 31, v3
	v_xor_b32_e32 v2, s12, v2
	v_cmp_gt_i32_e64 s12, 0, v6
	v_and_b32_e32 v1, v1, v41
	v_not_b32_e32 v6, v7
	v_ashrrev_i32_e32 v4, 31, v4
	v_xor_b32_e32 v3, s13, v3
	v_cmp_gt_i32_e64 s13, 0, v7
	v_and_b32_e32 v1, v1, v2
	;; [unrolled: 5-line block ×3, first 2 shown]
	v_not_b32_e32 v3, v5
	v_ashrrev_i32_e32 v2, 31, v2
	v_xor_b32_e32 v6, s13, v6
	v_lshlrev_b32_e32 v0, 3, v0
	v_and_b32_e32 v1, v1, v4
	v_cmp_gt_i32_e64 s13, 0, v5
	v_ashrrev_i32_e32 v3, 31, v3
	v_xor_b32_e32 v2, s12, v2
	v_add_lshl_u32 v41, v0, v13, 2
	v_and_b32_e32 v1, v1, v6
	s_delay_alu instid0(VALU_DEP_4) | instskip(SKIP_2) | instid1(VALU_DEP_1)
	v_xor_b32_e32 v0, s13, v3
	ds_load_b32 v40, v41 offset:32
	v_and_b32_e32 v1, v1, v2
	; wave barrier
	v_and_b32_e32 v0, v1, v0
	s_delay_alu instid0(VALU_DEP_1) | instskip(SKIP_1) | instid1(VALU_DEP_2)
	v_mbcnt_lo_u32_b32 v42, v0, 0
	v_cmp_ne_u32_e64 s13, 0, v0
	v_cmp_eq_u32_e64 s12, 0, v42
	s_delay_alu instid0(VALU_DEP_1) | instskip(NEXT) | instid1(SALU_CYCLE_1)
	s_and_b32 s13, s13, s12
	s_and_saveexec_b32 s12, s13
	s_cbranch_execz .LBB40_54
; %bb.53:
	s_waitcnt lgkmcnt(0)
	v_bcnt_u32_b32 v0, v0, v40
	ds_store_b32 v41, v0 offset:32
.LBB40_54:
	s_or_b32 exec_lo, exec_lo, s12
	v_lshrrev_b16 v0, 8, v24
	; wave barrier
	s_delay_alu instid0(VALU_DEP_1) | instskip(NEXT) | instid1(VALU_DEP_1)
	v_and_b32_e32 v0, 0xffff, v0
	v_and_b32_e32 v1, 1, v0
	v_lshlrev_b32_e32 v2, 30, v0
	v_lshlrev_b32_e32 v3, 29, v0
	v_lshlrev_b32_e32 v4, 28, v0
	v_lshlrev_b32_e32 v6, 27, v0
	v_add_co_u32 v1, s12, v1, -1
	s_delay_alu instid0(VALU_DEP_1)
	v_cndmask_b32_e64 v5, 0, 1, s12
	v_not_b32_e32 v44, v2
	v_cmp_gt_i32_e64 s13, 0, v2
	v_not_b32_e32 v2, v3
	v_lshlrev_b32_e32 v7, 26, v0
	v_cmp_ne_u32_e64 s12, 0, v5
	v_ashrrev_i32_e32 v44, 31, v44
	v_lshlrev_b32_e32 v43, 25, v0
	v_ashrrev_i32_e32 v2, 31, v2
	v_lshlrev_b32_e32 v5, 24, v0
	v_xor_b32_e32 v1, s12, v1
	v_cmp_gt_i32_e64 s12, 0, v3
	v_not_b32_e32 v3, v4
	v_xor_b32_e32 v44, s13, v44
	v_cmp_gt_i32_e64 s13, 0, v4
	v_and_b32_e32 v1, exec_lo, v1
	v_not_b32_e32 v4, v6
	v_ashrrev_i32_e32 v3, 31, v3
	v_xor_b32_e32 v2, s12, v2
	v_cmp_gt_i32_e64 s12, 0, v6
	v_and_b32_e32 v1, v1, v44
	v_not_b32_e32 v6, v7
	v_ashrrev_i32_e32 v4, 31, v4
	v_xor_b32_e32 v3, s13, v3
	v_cmp_gt_i32_e64 s13, 0, v7
	v_and_b32_e32 v1, v1, v2
	;; [unrolled: 5-line block ×3, first 2 shown]
	v_not_b32_e32 v3, v5
	v_ashrrev_i32_e32 v2, 31, v2
	v_xor_b32_e32 v6, s13, v6
	v_lshlrev_b32_e32 v0, 3, v0
	v_and_b32_e32 v1, v1, v4
	v_cmp_gt_i32_e64 s13, 0, v5
	v_ashrrev_i32_e32 v3, 31, v3
	v_xor_b32_e32 v2, s12, v2
	v_add_lshl_u32 v44, v0, v13, 2
	v_and_b32_e32 v1, v1, v6
	s_delay_alu instid0(VALU_DEP_4) | instskip(SKIP_2) | instid1(VALU_DEP_1)
	v_xor_b32_e32 v0, s13, v3
	ds_load_b32 v43, v44 offset:32
	v_and_b32_e32 v1, v1, v2
	; wave barrier
	v_and_b32_e32 v0, v1, v0
	s_delay_alu instid0(VALU_DEP_1) | instskip(SKIP_1) | instid1(VALU_DEP_2)
	v_mbcnt_lo_u32_b32 v45, v0, 0
	v_cmp_ne_u32_e64 s13, 0, v0
	v_cmp_eq_u32_e64 s12, 0, v45
	s_delay_alu instid0(VALU_DEP_1) | instskip(NEXT) | instid1(SALU_CYCLE_1)
	s_and_b32 s13, s13, s12
	s_and_saveexec_b32 s12, s13
	s_cbranch_execz .LBB40_56
; %bb.55:
	s_waitcnt lgkmcnt(0)
	v_bcnt_u32_b32 v0, v0, v43
	ds_store_b32 v44, v0 offset:32
.LBB40_56:
	s_or_b32 exec_lo, exec_lo, s12
	v_lshrrev_b16 v0, 8, v25
	; wave barrier
	s_delay_alu instid0(VALU_DEP_1) | instskip(NEXT) | instid1(VALU_DEP_1)
	v_and_b32_e32 v0, 0xffff, v0
	v_and_b32_e32 v1, 1, v0
	v_lshlrev_b32_e32 v2, 30, v0
	v_lshlrev_b32_e32 v3, 29, v0
	;; [unrolled: 1-line block ×4, first 2 shown]
	v_add_co_u32 v1, s12, v1, -1
	s_delay_alu instid0(VALU_DEP_1)
	v_cndmask_b32_e64 v5, 0, 1, s12
	v_not_b32_e32 v47, v2
	v_cmp_gt_i32_e64 s13, 0, v2
	v_not_b32_e32 v2, v3
	v_lshlrev_b32_e32 v7, 26, v0
	v_cmp_ne_u32_e64 s12, 0, v5
	v_ashrrev_i32_e32 v47, 31, v47
	v_lshlrev_b32_e32 v46, 25, v0
	v_ashrrev_i32_e32 v2, 31, v2
	v_lshlrev_b32_e32 v5, 24, v0
	v_xor_b32_e32 v1, s12, v1
	v_cmp_gt_i32_e64 s12, 0, v3
	v_not_b32_e32 v3, v4
	v_xor_b32_e32 v47, s13, v47
	v_cmp_gt_i32_e64 s13, 0, v4
	v_and_b32_e32 v1, exec_lo, v1
	v_not_b32_e32 v4, v6
	v_ashrrev_i32_e32 v3, 31, v3
	v_xor_b32_e32 v2, s12, v2
	v_cmp_gt_i32_e64 s12, 0, v6
	v_and_b32_e32 v1, v1, v47
	v_not_b32_e32 v6, v7
	v_ashrrev_i32_e32 v4, 31, v4
	v_xor_b32_e32 v3, s13, v3
	v_cmp_gt_i32_e64 s13, 0, v7
	v_and_b32_e32 v1, v1, v2
	;; [unrolled: 5-line block ×3, first 2 shown]
	v_not_b32_e32 v3, v5
	v_ashrrev_i32_e32 v2, 31, v2
	v_xor_b32_e32 v6, s13, v6
	v_lshlrev_b32_e32 v0, 3, v0
	v_and_b32_e32 v1, v1, v4
	v_cmp_gt_i32_e64 s13, 0, v5
	v_ashrrev_i32_e32 v3, 31, v3
	v_xor_b32_e32 v2, s12, v2
	v_add_lshl_u32 v47, v0, v13, 2
	v_and_b32_e32 v1, v1, v6
	s_delay_alu instid0(VALU_DEP_4) | instskip(SKIP_2) | instid1(VALU_DEP_1)
	v_xor_b32_e32 v0, s13, v3
	ds_load_b32 v46, v47 offset:32
	v_and_b32_e32 v1, v1, v2
	; wave barrier
	v_and_b32_e32 v0, v1, v0
	s_delay_alu instid0(VALU_DEP_1) | instskip(SKIP_1) | instid1(VALU_DEP_2)
	v_mbcnt_lo_u32_b32 v48, v0, 0
	v_cmp_ne_u32_e64 s13, 0, v0
	v_cmp_eq_u32_e64 s12, 0, v48
	s_delay_alu instid0(VALU_DEP_1) | instskip(NEXT) | instid1(SALU_CYCLE_1)
	s_and_b32 s13, s13, s12
	s_and_saveexec_b32 s12, s13
	s_cbranch_execz .LBB40_58
; %bb.57:
	s_waitcnt lgkmcnt(0)
	v_bcnt_u32_b32 v0, v0, v46
	ds_store_b32 v47, v0 offset:32
.LBB40_58:
	s_or_b32 exec_lo, exec_lo, s12
	v_lshrrev_b16 v0, 8, v26
	; wave barrier
	s_delay_alu instid0(VALU_DEP_1) | instskip(NEXT) | instid1(VALU_DEP_1)
	v_and_b32_e32 v0, 0xffff, v0
	v_and_b32_e32 v1, 1, v0
	v_lshlrev_b32_e32 v2, 30, v0
	v_lshlrev_b32_e32 v3, 29, v0
	;; [unrolled: 1-line block ×4, first 2 shown]
	v_add_co_u32 v1, s12, v1, -1
	s_delay_alu instid0(VALU_DEP_1)
	v_cndmask_b32_e64 v5, 0, 1, s12
	v_not_b32_e32 v50, v2
	v_cmp_gt_i32_e64 s13, 0, v2
	v_not_b32_e32 v2, v3
	v_lshlrev_b32_e32 v7, 26, v0
	v_cmp_ne_u32_e64 s12, 0, v5
	v_ashrrev_i32_e32 v50, 31, v50
	v_lshlrev_b32_e32 v49, 25, v0
	v_ashrrev_i32_e32 v2, 31, v2
	v_lshlrev_b32_e32 v5, 24, v0
	v_xor_b32_e32 v1, s12, v1
	v_cmp_gt_i32_e64 s12, 0, v3
	v_not_b32_e32 v3, v4
	v_xor_b32_e32 v50, s13, v50
	v_cmp_gt_i32_e64 s13, 0, v4
	v_and_b32_e32 v1, exec_lo, v1
	v_not_b32_e32 v4, v6
	v_ashrrev_i32_e32 v3, 31, v3
	v_xor_b32_e32 v2, s12, v2
	v_cmp_gt_i32_e64 s12, 0, v6
	v_and_b32_e32 v1, v1, v50
	v_not_b32_e32 v6, v7
	v_ashrrev_i32_e32 v4, 31, v4
	v_xor_b32_e32 v3, s13, v3
	v_cmp_gt_i32_e64 s13, 0, v7
	v_and_b32_e32 v1, v1, v2
	;; [unrolled: 5-line block ×3, first 2 shown]
	v_not_b32_e32 v3, v5
	v_ashrrev_i32_e32 v2, 31, v2
	v_xor_b32_e32 v6, s13, v6
	v_lshlrev_b32_e32 v0, 3, v0
	v_and_b32_e32 v1, v1, v4
	v_cmp_gt_i32_e64 s13, 0, v5
	v_ashrrev_i32_e32 v3, 31, v3
	v_xor_b32_e32 v2, s12, v2
	v_add_lshl_u32 v51, v0, v13, 2
	v_and_b32_e32 v1, v1, v6
	s_delay_alu instid0(VALU_DEP_4) | instskip(SKIP_2) | instid1(VALU_DEP_1)
	v_xor_b32_e32 v0, s13, v3
	ds_load_b32 v49, v51 offset:32
	v_and_b32_e32 v1, v1, v2
	; wave barrier
	v_and_b32_e32 v0, v1, v0
	s_delay_alu instid0(VALU_DEP_1) | instskip(SKIP_1) | instid1(VALU_DEP_2)
	v_mbcnt_lo_u32_b32 v50, v0, 0
	v_cmp_ne_u32_e64 s13, 0, v0
	v_cmp_eq_u32_e64 s12, 0, v50
	s_delay_alu instid0(VALU_DEP_1) | instskip(NEXT) | instid1(SALU_CYCLE_1)
	s_and_b32 s13, s13, s12
	s_and_saveexec_b32 s12, s13
	s_cbranch_execz .LBB40_60
; %bb.59:
	s_waitcnt lgkmcnt(0)
	v_bcnt_u32_b32 v0, v0, v49
	ds_store_b32 v51, v0 offset:32
.LBB40_60:
	s_or_b32 exec_lo, exec_lo, s12
	v_lshrrev_b16 v0, 8, v27
	; wave barrier
	s_delay_alu instid0(VALU_DEP_1) | instskip(NEXT) | instid1(VALU_DEP_1)
	v_and_b32_e32 v0, 0xffff, v0
	v_and_b32_e32 v1, 1, v0
	v_lshlrev_b32_e32 v2, 30, v0
	v_lshlrev_b32_e32 v3, 29, v0
	;; [unrolled: 1-line block ×4, first 2 shown]
	v_add_co_u32 v1, s12, v1, -1
	s_delay_alu instid0(VALU_DEP_1)
	v_cndmask_b32_e64 v5, 0, 1, s12
	v_not_b32_e32 v53, v2
	v_cmp_gt_i32_e64 s13, 0, v2
	v_not_b32_e32 v2, v3
	v_lshlrev_b32_e32 v7, 26, v0
	v_cmp_ne_u32_e64 s12, 0, v5
	v_ashrrev_i32_e32 v53, 31, v53
	v_lshlrev_b32_e32 v52, 25, v0
	v_ashrrev_i32_e32 v2, 31, v2
	v_lshlrev_b32_e32 v5, 24, v0
	v_xor_b32_e32 v1, s12, v1
	v_cmp_gt_i32_e64 s12, 0, v3
	v_not_b32_e32 v3, v4
	v_xor_b32_e32 v53, s13, v53
	v_cmp_gt_i32_e64 s13, 0, v4
	v_and_b32_e32 v1, exec_lo, v1
	v_not_b32_e32 v4, v6
	v_ashrrev_i32_e32 v3, 31, v3
	v_xor_b32_e32 v2, s12, v2
	v_cmp_gt_i32_e64 s12, 0, v6
	v_and_b32_e32 v1, v1, v53
	v_not_b32_e32 v6, v7
	v_ashrrev_i32_e32 v4, 31, v4
	v_xor_b32_e32 v3, s13, v3
	v_cmp_gt_i32_e64 s13, 0, v7
	v_and_b32_e32 v1, v1, v2
	;; [unrolled: 5-line block ×3, first 2 shown]
	v_not_b32_e32 v3, v5
	v_ashrrev_i32_e32 v2, 31, v2
	v_xor_b32_e32 v6, s13, v6
	v_lshlrev_b32_e32 v0, 3, v0
	v_and_b32_e32 v1, v1, v4
	v_cmp_gt_i32_e64 s13, 0, v5
	v_ashrrev_i32_e32 v3, 31, v3
	v_xor_b32_e32 v2, s12, v2
	v_add_lshl_u32 v53, v0, v13, 2
	v_and_b32_e32 v1, v1, v6
	s_delay_alu instid0(VALU_DEP_4) | instskip(SKIP_2) | instid1(VALU_DEP_1)
	v_xor_b32_e32 v0, s13, v3
	ds_load_b32 v13, v53 offset:32
	v_and_b32_e32 v1, v1, v2
	; wave barrier
	v_and_b32_e32 v0, v1, v0
	s_delay_alu instid0(VALU_DEP_1) | instskip(SKIP_1) | instid1(VALU_DEP_2)
	v_mbcnt_lo_u32_b32 v52, v0, 0
	v_cmp_ne_u32_e64 s13, 0, v0
	v_cmp_eq_u32_e64 s12, 0, v52
	s_delay_alu instid0(VALU_DEP_1) | instskip(NEXT) | instid1(SALU_CYCLE_1)
	s_and_b32 s13, s13, s12
	s_and_saveexec_b32 s12, s13
	s_cbranch_execz .LBB40_62
; %bb.61:
	s_waitcnt lgkmcnt(0)
	v_bcnt_u32_b32 v0, v0, v13
	ds_store_b32 v53, v0 offset:32
.LBB40_62:
	s_or_b32 exec_lo, exec_lo, s12
	; wave barrier
	s_waitcnt lgkmcnt(0)
	s_barrier
	buffer_gl0_inv
	ds_load_2addr_b64 v[4:7], v19 offset0:4 offset1:5
	ds_load_2addr_b64 v[0:3], v15 offset0:2 offset1:3
	s_waitcnt lgkmcnt(1)
	v_add_nc_u32_e32 v54, v5, v4
	s_delay_alu instid0(VALU_DEP_1) | instskip(SKIP_1) | instid1(VALU_DEP_1)
	v_add3_u32 v54, v54, v6, v7
	s_waitcnt lgkmcnt(0)
	v_add3_u32 v54, v54, v0, v1
	s_delay_alu instid0(VALU_DEP_1) | instskip(NEXT) | instid1(VALU_DEP_1)
	v_add3_u32 v3, v54, v2, v3
	v_mov_b32_dpp v54, v3 row_shr:1 row_mask:0xf bank_mask:0xf
	s_delay_alu instid0(VALU_DEP_1) | instskip(NEXT) | instid1(VALU_DEP_1)
	v_cndmask_b32_e64 v54, v54, 0, s2
	v_add_nc_u32_e32 v3, v54, v3
	s_delay_alu instid0(VALU_DEP_1) | instskip(NEXT) | instid1(VALU_DEP_1)
	v_mov_b32_dpp v54, v3 row_shr:2 row_mask:0xf bank_mask:0xf
	v_cndmask_b32_e64 v54, 0, v54, s3
	s_delay_alu instid0(VALU_DEP_1) | instskip(NEXT) | instid1(VALU_DEP_1)
	v_add_nc_u32_e32 v3, v3, v54
	v_mov_b32_dpp v54, v3 row_shr:4 row_mask:0xf bank_mask:0xf
	s_delay_alu instid0(VALU_DEP_1) | instskip(NEXT) | instid1(VALU_DEP_1)
	v_cndmask_b32_e64 v54, 0, v54, s4
	v_add_nc_u32_e32 v3, v3, v54
	s_delay_alu instid0(VALU_DEP_1) | instskip(NEXT) | instid1(VALU_DEP_1)
	v_mov_b32_dpp v54, v3 row_shr:8 row_mask:0xf bank_mask:0xf
	v_cndmask_b32_e64 v54, 0, v54, s5
	s_delay_alu instid0(VALU_DEP_1) | instskip(SKIP_3) | instid1(VALU_DEP_1)
	v_add_nc_u32_e32 v3, v3, v54
	ds_swizzle_b32 v54, v3 offset:swizzle(BROADCAST,32,15)
	s_waitcnt lgkmcnt(0)
	v_cndmask_b32_e64 v54, v54, 0, s8
	v_add_nc_u32_e32 v3, v3, v54
	s_and_saveexec_b32 s2, s7
	s_cbranch_execz .LBB40_64
; %bb.63:
	ds_store_b32 v20, v3
.LBB40_64:
	s_or_b32 exec_lo, exec_lo, s2
	s_waitcnt lgkmcnt(0)
	s_barrier
	buffer_gl0_inv
	s_and_saveexec_b32 s2, s6
	s_cbranch_execz .LBB40_66
; %bb.65:
	ds_load_b32 v20, v14
	s_waitcnt lgkmcnt(0)
	v_mov_b32_dpp v54, v20 row_shr:1 row_mask:0xf bank_mask:0xf
	s_delay_alu instid0(VALU_DEP_1) | instskip(NEXT) | instid1(VALU_DEP_1)
	v_cndmask_b32_e64 v54, v54, 0, s1
	v_add_nc_u32_e32 v20, v54, v20
	s_delay_alu instid0(VALU_DEP_1) | instskip(NEXT) | instid1(VALU_DEP_1)
	v_mov_b32_dpp v54, v20 row_shr:2 row_mask:0xf bank_mask:0xf
	v_cndmask_b32_e64 v54, 0, v54, s0
	s_delay_alu instid0(VALU_DEP_1) | instskip(NEXT) | instid1(VALU_DEP_1)
	v_add_nc_u32_e32 v20, v20, v54
	v_mov_b32_dpp v54, v20 row_shr:4 row_mask:0xf bank_mask:0xf
	s_delay_alu instid0(VALU_DEP_1) | instskip(NEXT) | instid1(VALU_DEP_1)
	v_cndmask_b32_e32 v54, 0, v54, vcc_lo
	v_add_nc_u32_e32 v20, v20, v54
	ds_store_b32 v14, v20
.LBB40_66:
	s_or_b32 exec_lo, exec_lo, s2
	v_mov_b32_e32 v14, 0
	s_waitcnt lgkmcnt(0)
	s_barrier
	buffer_gl0_inv
	s_and_saveexec_b32 s0, s9
	s_cbranch_execz .LBB40_68
; %bb.67:
	ds_load_b32 v14, v16
.LBB40_68:
	s_or_b32 exec_lo, exec_lo, s0
	s_waitcnt lgkmcnt(0)
	v_add_nc_u32_e32 v3, v14, v3
	ds_bpermute_b32 v3, v22, v3
	s_waitcnt lgkmcnt(0)
	v_cndmask_b32_e64 v3, v3, v14, s10
	s_delay_alu instid0(VALU_DEP_1) | instskip(NEXT) | instid1(VALU_DEP_1)
	v_cndmask_b32_e64 v3, v3, 0, s11
	v_add_nc_u32_e32 v4, v3, v4
	s_delay_alu instid0(VALU_DEP_1) | instskip(NEXT) | instid1(VALU_DEP_1)
	v_add_nc_u32_e32 v5, v4, v5
	v_add_nc_u32_e32 v6, v5, v6
	s_delay_alu instid0(VALU_DEP_1) | instskip(NEXT) | instid1(VALU_DEP_1)
	v_add_nc_u32_e32 v54, v6, v7
	;; [unrolled: 3-line block ×3, first 2 shown]
	v_add_nc_u32_e32 v1, v0, v2
	ds_store_2addr_b64 v19, v[3:4], v[5:6] offset0:4 offset1:5
	ds_store_2addr_b64 v15, v[54:55], v[0:1] offset0:2 offset1:3
	s_waitcnt lgkmcnt(0)
	s_barrier
	buffer_gl0_inv
	ds_load_b32 v0, v53 offset:32
	ds_load_b32 v1, v51 offset:32
	;; [unrolled: 1-line block ×7, first 2 shown]
	s_waitcnt lgkmcnt(0)
	s_barrier
	buffer_gl0_inv
	v_add_nc_u32_e32 v36, 2, v17
	v_add3_u32 v7, v52, v13, v0
	v_add3_u32 v13, v50, v49, v1
	v_add_nc_u32_e32 v14, v2, v35
	v_add3_u32 v15, v39, v37, v3
	v_add3_u32 v16, v42, v40, v4
	;; [unrolled: 1-line block ×4, first 2 shown]
	v_lshlrev_b32_e32 v0, 1, v14
	v_lshlrev_b32_e32 v1, 1, v15
	;; [unrolled: 1-line block ×7, first 2 shown]
	ds_store_b16 v0, v8
	ds_store_b16 v1, v21
	;; [unrolled: 1-line block ×7, first 2 shown]
	s_waitcnt lgkmcnt(0)
	s_barrier
	buffer_gl0_inv
	ds_load_b96 v[0:2], v18
	ds_load_u16 v3, v18 offset:12
	v_add_nc_u32_e32 v5, 4, v17
	v_add_nc_u32_e32 v4, 6, v17
	s_waitcnt lgkmcnt(0)
	s_barrier
	buffer_gl0_inv
	ds_store_b8 v14, v28
	ds_store_b8 v15, v29
	;; [unrolled: 1-line block ×7, first 2 shown]
	s_waitcnt lgkmcnt(0)
	s_barrier
.LBB40_69:
	s_waitcnt vmcnt(0) lgkmcnt(0)
	buffer_gl0_inv
	ds_load_u8 v6, v17 offset:1
	ds_load_u8 v7, v17 offset:3
	ds_load_u8 v8, v17
	ds_load_u8 v13, v36
	ds_load_u8 v14, v17 offset:5
	ds_load_u8 v5, v5
	ds_load_u8 v4, v4
	s_waitcnt lgkmcnt(6)
	v_lshlrev_b16 v6, 8, v6
	s_waitcnt lgkmcnt(5)
	v_lshlrev_b16 v7, 8, v7
	s_waitcnt lgkmcnt(4)
	s_delay_alu instid0(VALU_DEP_2) | instskip(SKIP_1) | instid1(VALU_DEP_2)
	v_or_b32_e32 v6, v8, v6
	s_waitcnt lgkmcnt(3)
	v_or_b32_e32 v7, v13, v7
	s_waitcnt lgkmcnt(2)
	v_lshlrev_b16 v8, 8, v14
	v_and_b32_e32 v6, 0xffff, v6
	s_delay_alu instid0(VALU_DEP_3) | instskip(SKIP_1) | instid1(VALU_DEP_3)
	v_lshlrev_b32_e32 v7, 16, v7
	s_waitcnt lgkmcnt(1)
	v_or_b32_e32 v5, v5, v8
	s_delay_alu instid0(VALU_DEP_2)
	v_or_b32_e32 v6, v6, v7
	s_clause 0x1
	global_store_b16 v[11:12], v3, off offset:12
	global_store_b96 v[11:12], v[0:2], off
	s_waitcnt lgkmcnt(0)
	s_clause 0x2
	global_store_b8 v[9:10], v4, off offset:6
	global_store_b16 v[9:10], v5, off offset:4
	global_store_b32 v[9:10], v6, off
	s_nop 0
	s_sendmsg sendmsg(MSG_DEALLOC_VGPRS)
	s_endpgm
	.section	.rodata,"a",@progbits
	.p2align	6, 0x0
	.amdhsa_kernel _Z21sort_key_value_kernelILj256ELj7ELb0ELb0EtcEvPT3_PT4_jj
		.amdhsa_group_segment_fixed_size 8224
		.amdhsa_private_segment_fixed_size 0
		.amdhsa_kernarg_size 280
		.amdhsa_user_sgpr_count 15
		.amdhsa_user_sgpr_dispatch_ptr 0
		.amdhsa_user_sgpr_queue_ptr 0
		.amdhsa_user_sgpr_kernarg_segment_ptr 1
		.amdhsa_user_sgpr_dispatch_id 0
		.amdhsa_user_sgpr_private_segment_size 0
		.amdhsa_wavefront_size32 1
		.amdhsa_uses_dynamic_stack 0
		.amdhsa_enable_private_segment 0
		.amdhsa_system_sgpr_workgroup_id_x 1
		.amdhsa_system_sgpr_workgroup_id_y 0
		.amdhsa_system_sgpr_workgroup_id_z 0
		.amdhsa_system_sgpr_workgroup_info 0
		.amdhsa_system_vgpr_workitem_id 2
		.amdhsa_next_free_vgpr 76
		.amdhsa_next_free_sgpr 26
		.amdhsa_reserve_vcc 1
		.amdhsa_float_round_mode_32 0
		.amdhsa_float_round_mode_16_64 0
		.amdhsa_float_denorm_mode_32 3
		.amdhsa_float_denorm_mode_16_64 3
		.amdhsa_dx10_clamp 1
		.amdhsa_ieee_mode 1
		.amdhsa_fp16_overflow 0
		.amdhsa_workgroup_processor_mode 1
		.amdhsa_memory_ordered 1
		.amdhsa_forward_progress 0
		.amdhsa_shared_vgpr_count 0
		.amdhsa_exception_fp_ieee_invalid_op 0
		.amdhsa_exception_fp_denorm_src 0
		.amdhsa_exception_fp_ieee_div_zero 0
		.amdhsa_exception_fp_ieee_overflow 0
		.amdhsa_exception_fp_ieee_underflow 0
		.amdhsa_exception_fp_ieee_inexact 0
		.amdhsa_exception_int_div_zero 0
	.end_amdhsa_kernel
	.section	.text._Z21sort_key_value_kernelILj256ELj7ELb0ELb0EtcEvPT3_PT4_jj,"axG",@progbits,_Z21sort_key_value_kernelILj256ELj7ELb0ELb0EtcEvPT3_PT4_jj,comdat
.Lfunc_end40:
	.size	_Z21sort_key_value_kernelILj256ELj7ELb0ELb0EtcEvPT3_PT4_jj, .Lfunc_end40-_Z21sort_key_value_kernelILj256ELj7ELb0ELb0EtcEvPT3_PT4_jj
                                        ; -- End function
	.section	.AMDGPU.csdata,"",@progbits
; Kernel info:
; codeLenInByte = 11740
; NumSgprs: 28
; NumVgprs: 76
; ScratchSize: 0
; MemoryBound: 0
; FloatMode: 240
; IeeeMode: 1
; LDSByteSize: 8224 bytes/workgroup (compile time only)
; SGPRBlocks: 3
; VGPRBlocks: 9
; NumSGPRsForWavesPerEU: 28
; NumVGPRsForWavesPerEU: 76
; Occupancy: 16
; WaveLimiterHint : 0
; COMPUTE_PGM_RSRC2:SCRATCH_EN: 0
; COMPUTE_PGM_RSRC2:USER_SGPR: 15
; COMPUTE_PGM_RSRC2:TRAP_HANDLER: 0
; COMPUTE_PGM_RSRC2:TGID_X_EN: 1
; COMPUTE_PGM_RSRC2:TGID_Y_EN: 0
; COMPUTE_PGM_RSRC2:TGID_Z_EN: 0
; COMPUTE_PGM_RSRC2:TIDIG_COMP_CNT: 2
	.section	.text._Z21sort_key_value_kernelILj128ELj4ELb0ELb0EisEvPT3_PT4_jj,"axG",@progbits,_Z21sort_key_value_kernelILj128ELj4ELb0ELb0EisEvPT3_PT4_jj,comdat
	.protected	_Z21sort_key_value_kernelILj128ELj4ELb0ELb0EisEvPT3_PT4_jj ; -- Begin function _Z21sort_key_value_kernelILj128ELj4ELb0ELb0EisEvPT3_PT4_jj
	.globl	_Z21sort_key_value_kernelILj128ELj4ELb0ELb0EisEvPT3_PT4_jj
	.p2align	8
	.type	_Z21sort_key_value_kernelILj128ELj4ELb0ELb0EisEvPT3_PT4_jj,@function
_Z21sort_key_value_kernelILj128ELj4ELb0ELb0EisEvPT3_PT4_jj: ; @_Z21sort_key_value_kernelILj128ELj4ELb0ELb0EisEvPT3_PT4_jj
; %bb.0:
	s_clause 0x1
	s_load_b128 s[4:7], s[0:1], 0x0
	s_load_b64 s[22:23], s[0:1], 0x10
	v_and_b32_e32 v8, 0x3ff, v0
	s_mov_b32 s25, 0
	s_lshl_b32 s24, s15, 9
	v_mbcnt_lo_u32_b32 v14, -1, 0
	s_lshl_b64 s[2:3], s[24:25], 2
	v_lshlrev_b32_e32 v37, 4, v8
	v_lshlrev_b32_e32 v38, 3, v8
	;; [unrolled: 1-line block ×3, first 2 shown]
	v_lshrrev_b32_e32 v7, 2, v14
	v_and_b32_e32 v13, 3, v14
	v_and_b32_e32 v26, 28, v14
	v_bfe_u32 v24, v0, 10, 10
	v_bfe_u32 v25, v0, 20, 10
	v_and_b32_e32 v16, 15, v14
	v_and_b32_e32 v15, 16, v14
	v_add_nc_u32_e32 v20, -1, v14
	v_or_b32_e32 v28, 32, v26
	v_lshlrev_b32_e32 v27, 2, v7
	s_waitcnt lgkmcnt(0)
	s_add_u32 s18, s4, s2
	s_addc_u32 s19, s5, s3
	s_lshl_b64 s[2:3], s[24:25], 1
	global_load_b128 v[1:4], v37, s[18:19]
	s_add_u32 s20, s6, s2
	s_addc_u32 s21, s7, s3
	s_cmp_lg_u32 s22, 0
	global_load_b64 v[5:6], v38, s[20:21]
	s_cselect_b32 s10, -1, 0
	s_cmp_lg_u32 s23, 32
	v_cmp_eq_u32_e64 s6, 0, v14
	s_cselect_b32 s11, -1, 0
	v_cmp_eq_u32_e64 s3, 3, v13
	v_cmp_eq_u32_e64 s4, 2, v13
	;; [unrolled: 1-line block ×4, first 2 shown]
	v_lshlrev_b32_e32 v18, 5, v8
	v_and_b32_e32 v23, 0x3e0, v8
	v_cmp_gt_u32_e64 s7, 4, v8
	v_cmp_lt_u32_e64 s8, 31, v8
	v_cmp_eq_u32_e64 s9, 0, v8
	v_lshrrev_b32_e32 v21, 3, v8
	v_mul_i32_i24_e32 v19, 0xffffffe4, v8
	s_or_b32 s11, s10, s11
	v_cmp_lt_u32_e64 s10, 1, v13
	v_and_or_b32 v22, 0xf80, v17, v14
	s_and_b32 vcc_lo, exec_lo, s11
	s_mov_b32 s11, -1
	s_waitcnt vmcnt(1)
	v_xor_b32_e32 v35, 0x80000000, v1
	v_xor_b32_e32 v34, 0x80000000, v2
	;; [unrolled: 1-line block ×4, first 2 shown]
	s_waitcnt vmcnt(0)
	v_lshrrev_b32_e32 v33, 16, v5
	v_lshrrev_b32_e32 v29, 16, v6
	v_and_b32_e32 v36, 0xffff, v5
	v_and_b32_e32 v32, 0xffff, v6
	s_cbranch_vccz .LBB41_20
; %bb.1:
	ds_bpermute_b32 v0, v26, v36
	ds_bpermute_b32 v1, v26, v33
	ds_bpermute_b32 v3, v26, v36 offset:64
	ds_bpermute_b32 v4, v26, v33 offset:64
	ds_bpermute_b32 v5, v26, v32
	ds_bpermute_b32 v9, v26, v32 offset:64
	ds_bpermute_b32 v42, v26, v29
	ds_bpermute_b32 v40, v26, v29 offset:64
	v_cmp_gt_i32_e32 vcc_lo, 0, v20
	s_mov_b32 s24, s25
	ds_bpermute_b32 v47, v27, v36 offset:96
	s_mov_b32 s26, s25
	s_mov_b32 s27, s25
	ds_bpermute_b32 v2, v26, v35
	ds_bpermute_b32 v6, v26, v34
	;; [unrolled: 1-line block ×6, first 2 shown]
	s_waitcnt lgkmcnt(0)
	s_barrier
	v_cndmask_b32_e64 v0, v0, v1, s5
	ds_bpermute_b32 v1, v28, v36
	v_and_b32_e32 v3, 0xffff, v3
	v_and_b32_e32 v4, 0xffff, v4
	;; [unrolled: 1-line block ×3, first 2 shown]
	v_bfi_b32 v5, 0xffff, v5, v0
	s_waitcnt lgkmcnt(0)
	buffer_gl0_inv
	s_load_b32 s11, s[0:1], 0x24
	v_cndmask_b32_e64 v3, v3, v4, s5
	ds_bpermute_b32 v4, v27, v33 offset:96
	v_cndmask_b32_e64 v0, v0, v5, s4
	v_and_b32_e32 v5, 0xffff, v40
	ds_bpermute_b32 v40, v27, v32 offset:96
	v_cndmask_b32_e64 v3, v3, v9, s4
	ds_bpermute_b32 v43, v26, v35 offset:64
	v_bfi_b32 v9, 0xffff, v42, v0
	ds_bpermute_b32 v44, v26, v34 offset:64
	ds_bpermute_b32 v39, v28, v30
	v_cndmask_b32_e64 v3, v3, v5, s3
	v_cndmask_b32_e64 v2, v2, v6, s5
	;; [unrolled: 1-line block ×3, first 2 shown]
	ds_bpermute_b32 v9, v28, v32
	v_cndmask_b32_e64 v6, v11, v12, s5
	v_perm_b32 v42, v47, v3, 0x5040100
	ds_bpermute_b32 v45, v26, v30 offset:64
	v_perm_b32 v1, v1, v0, 0x5040100
	ds_bpermute_b32 v10, v26, v31
	ds_bpermute_b32 v5, v26, v31 offset:64
	v_cndmask_b32_e64 v3, v3, v42, s2
	ds_bpermute_b32 v51, v28, v29
	v_cndmask_b32_e64 v0, v0, v1, s2
	ds_bpermute_b32 v1, v27, v29 offset:96
	ds_bpermute_b32 v46, v27, v35 offset:96
	s_waitcnt lgkmcnt(0)
	v_perm_b32 v4, v4, v3, 0x5040100
	ds_bpermute_b32 v48, v27, v34 offset:96
	v_perm_b32 v11, v49, v0, 0x5040100
	s_lshr_b32 s12, s11, 16
	v_cndmask_b32_e64 v2, v2, v7, s4
	v_cndmask_b32_e64 v3, v3, v4, s5
	v_mad_u32_u24 v4, v25, s12, v24
	v_cndmask_b32_e64 v0, v0, v11, s5
	ds_bpermute_b32 v41, v28, v31
	ds_bpermute_b32 v47, v27, v30 offset:96
	v_perm_b32 v7, v40, v3, 0x5040100
	v_cndmask_b32_e64 v12, v43, v44, s5
	v_perm_b32 v9, v9, v0, 0x5040100
	s_and_b32 s11, s11, 0xffff
	v_cndmask_b32_e64 v11, v6, v39, s4
	v_cndmask_b32_e64 v40, v3, v7, s4
	ds_bpermute_b32 v50, v27, v31 offset:96
	v_cndmask_b32_e64 v9, v0, v9, s4
	v_cndmask_b32_e64 v12, v12, v45, s4
	;; [unrolled: 1-line block ×3, first 2 shown]
	v_lshlrev_b32_e32 v44, 2, v22
	s_waitcnt lgkmcnt(3)
	v_cndmask_b32_e64 v42, v46, v48, s5
	v_mad_u64_u32 v[6:7], null, v4, s11, v[8:9]
	v_perm_b32 v4, v1, v40, 0x5040100
	v_perm_b32 v7, v51, v9, 0x5040100
	v_cndmask_b32_e64 v2, v12, v5, s3
	v_cmp_eq_u32_e64 s11, 0, v16
	s_waitcnt lgkmcnt(2)
	v_cndmask_b32_e64 v1, v11, v41, s3
	v_mov_b32_e32 v11, s26
	v_cndmask_b32_e64 v5, v40, v4, s3
	v_lshrrev_b32_e32 v40, 5, v6
	v_min_u32_e32 v6, 0x60, v23
	v_cndmask_b32_e64 v4, v9, v7, s3
	v_lshlrev_b32_e32 v9, 1, v22
	v_cndmask_b32_e32 v7, v20, v14, vcc_lo
	s_waitcnt lgkmcnt(1)
	v_cndmask_b32_e64 v39, v42, v47, s4
	v_or_b32_e32 v6, 31, v6
	v_and_b32_e32 v41, 0x7c, v21
	v_cmp_lt_u32_e64 s12, 1, v16
	v_lshlrev_b32_e32 v42, 2, v7
	s_waitcnt lgkmcnt(0)
	v_cndmask_b32_e64 v3, v39, v50, s3
	v_cmp_eq_u32_e64 s16, v6, v8
	v_sub_nc_u32_e32 v6, 0, v9
	v_mov_b32_e32 v9, s24
	v_or_b32_e32 v39, 16, v18
	v_cmp_lt_u32_e64 s13, 3, v16
	v_cmp_lt_u32_e64 s14, 7, v16
	v_cmp_eq_u32_e64 s15, 0, v15
	v_dual_mov_b32 v10, s25 :: v_dual_add_nc_u32 v43, -4, v41
	v_dual_mov_b32 v12, s27 :: v_dual_add_nc_u32 v45, v18, v19
	v_add_nc_u32_e32 v46, v44, v6
	s_sub_i32 s24, s23, s22
	s_branch .LBB41_3
.LBB41_2:                               ;   in Loop: Header=BB41_3 Depth=1
	v_lshlrev_b32_e32 v4, 1, v60
	v_lshlrev_b32_e32 v5, 1, v57
	;; [unrolled: 1-line block ×4, first 2 shown]
	s_barrier
	v_sub_nc_u32_e32 v4, v53, v4
	v_sub_nc_u32_e32 v5, v54, v5
	;; [unrolled: 1-line block ×4, first 2 shown]
	buffer_gl0_inv
	ds_store_b32 v53, v47
	ds_store_b32 v54, v52
	;; [unrolled: 1-line block ×4, first 2 shown]
	s_waitcnt lgkmcnt(0)
	s_barrier
	buffer_gl0_inv
	ds_load_2addr_b32 v[0:1], v44 offset1:32
	ds_load_2addr_b32 v[2:3], v44 offset0:64 offset1:96
	s_waitcnt lgkmcnt(0)
	s_barrier
	buffer_gl0_inv
	ds_store_b16 v4, v49
	ds_store_b16_d16_hi v5, v49
	ds_store_b16 v58, v48
	ds_store_b16_d16_hi v59, v48
	s_waitcnt lgkmcnt(0)
	s_barrier
	buffer_gl0_inv
	ds_load_u16 v4, v46
	ds_load_u16 v5, v46 offset:128
	s_add_i32 s24, s24, -8
	s_waitcnt lgkmcnt(1)
	ds_load_u16_d16_hi v4, v46 offset:64
	s_waitcnt lgkmcnt(1)
	ds_load_u16_d16_hi v5, v46 offset:192
	s_waitcnt lgkmcnt(0)
	s_barrier
	buffer_gl0_inv
	s_cbranch_execz .LBB41_19
.LBB41_3:                               ; =>This Inner Loop Header: Depth=1
	s_min_u32 s17, s24, 8
	ds_store_2addr_b64 v18, v[9:10], v[11:12] offset0:2 offset1:3
	ds_store_2addr_b64 v39, v[9:10], v[11:12] offset0:2 offset1:3
	s_lshl_b32 s17, -1, s17
	s_waitcnt lgkmcnt(0)
	s_not_b32 s25, s17
	v_mov_b32_e32 v47, v0
	s_barrier
	buffer_gl0_inv
	; wave barrier
	v_lshrrev_b32_e32 v0, s22, v47
	s_delay_alu instid0(VALU_DEP_1) | instskip(NEXT) | instid1(VALU_DEP_1)
	v_and_b32_e32 v6, s25, v0
	v_and_b32_e32 v0, 1, v6
	v_lshlrev_b32_e32 v7, 30, v6
	v_lshlrev_b32_e32 v48, 29, v6
	;; [unrolled: 1-line block ×4, first 2 shown]
	v_add_co_u32 v0, s17, v0, -1
	s_delay_alu instid0(VALU_DEP_1)
	v_cndmask_b32_e64 v50, 0, 1, s17
	v_not_b32_e32 v54, v7
	v_cmp_gt_i32_e64 s17, 0, v7
	v_not_b32_e32 v7, v48
	v_lshlrev_b32_e32 v52, 26, v6
	v_cmp_ne_u32_e32 vcc_lo, 0, v50
	v_ashrrev_i32_e32 v54, 31, v54
	v_lshlrev_b32_e32 v53, 25, v6
	v_ashrrev_i32_e32 v7, 31, v7
	v_lshlrev_b32_e32 v50, 24, v6
	v_xor_b32_e32 v0, vcc_lo, v0
	v_cmp_gt_i32_e32 vcc_lo, 0, v48
	v_not_b32_e32 v48, v49
	v_xor_b32_e32 v54, s17, v54
	v_cmp_gt_i32_e64 s17, 0, v49
	v_and_b32_e32 v0, exec_lo, v0
	v_not_b32_e32 v49, v51
	v_ashrrev_i32_e32 v48, 31, v48
	v_xor_b32_e32 v7, vcc_lo, v7
	v_cmp_gt_i32_e32 vcc_lo, 0, v51
	v_and_b32_e32 v0, v0, v54
	v_not_b32_e32 v51, v52
	v_ashrrev_i32_e32 v49, 31, v49
	v_xor_b32_e32 v48, s17, v48
	v_cmp_gt_i32_e64 s17, 0, v52
	v_and_b32_e32 v0, v0, v7
	v_not_b32_e32 v7, v53
	v_ashrrev_i32_e32 v51, 31, v51
	v_xor_b32_e32 v49, vcc_lo, v49
	v_cmp_gt_i32_e32 vcc_lo, 0, v53
	v_and_b32_e32 v0, v0, v48
	v_not_b32_e32 v48, v50
	v_ashrrev_i32_e32 v7, 31, v7
	v_xor_b32_e32 v51, s17, v51
	v_cmp_gt_i32_e64 s17, 0, v50
	v_and_b32_e32 v0, v0, v49
	v_ashrrev_i32_e32 v48, 31, v48
	v_xor_b32_e32 v7, vcc_lo, v7
	v_mov_b32_e32 v52, v1
	v_lshl_add_u32 v1, v6, 2, v40
	v_and_b32_e32 v0, v0, v51
	v_xor_b32_e32 v48, s17, v48
	v_dual_mov_b32 v50, v3 :: v_dual_mov_b32 v51, v2
	v_mov_b32_e32 v49, v4
	s_delay_alu instid0(VALU_DEP_4) | instskip(SKIP_1) | instid1(VALU_DEP_2)
	v_and_b32_e32 v0, v0, v7
	v_lshl_add_u32 v54, v1, 2, 16
	v_and_b32_e32 v0, v0, v48
	v_mov_b32_e32 v48, v5
	s_delay_alu instid0(VALU_DEP_2) | instskip(SKIP_1) | instid1(VALU_DEP_2)
	v_mbcnt_lo_u32_b32 v53, v0, 0
	v_cmp_ne_u32_e64 s17, 0, v0
	v_cmp_eq_u32_e32 vcc_lo, 0, v53
	s_delay_alu instid0(VALU_DEP_2) | instskip(NEXT) | instid1(SALU_CYCLE_1)
	s_and_b32 s26, s17, vcc_lo
	s_and_saveexec_b32 s17, s26
	s_cbranch_execz .LBB41_5
; %bb.4:                                ;   in Loop: Header=BB41_3 Depth=1
	v_bcnt_u32_b32 v0, v0, 0
	ds_store_b32 v54, v0
.LBB41_5:                               ;   in Loop: Header=BB41_3 Depth=1
	s_or_b32 exec_lo, exec_lo, s17
	v_lshrrev_b32_e32 v0, s22, v52
	; wave barrier
	s_delay_alu instid0(VALU_DEP_1) | instskip(NEXT) | instid1(VALU_DEP_1)
	v_and_b32_e32 v0, s25, v0
	v_and_b32_e32 v1, 1, v0
	v_lshlrev_b32_e32 v2, 30, v0
	v_lshlrev_b32_e32 v3, 29, v0
	;; [unrolled: 1-line block ×4, first 2 shown]
	v_add_co_u32 v1, s17, v1, -1
	s_delay_alu instid0(VALU_DEP_1)
	v_cndmask_b32_e64 v5, 0, 1, s17
	v_not_b32_e32 v56, v2
	v_cmp_gt_i32_e64 s17, 0, v2
	v_not_b32_e32 v2, v3
	v_lshlrev_b32_e32 v7, 26, v0
	v_cmp_ne_u32_e32 vcc_lo, 0, v5
	v_ashrrev_i32_e32 v56, 31, v56
	v_lshlrev_b32_e32 v55, 25, v0
	v_ashrrev_i32_e32 v2, 31, v2
	v_lshlrev_b32_e32 v5, 24, v0
	v_xor_b32_e32 v1, vcc_lo, v1
	v_cmp_gt_i32_e32 vcc_lo, 0, v3
	v_not_b32_e32 v3, v4
	v_xor_b32_e32 v56, s17, v56
	v_cmp_gt_i32_e64 s17, 0, v4
	v_and_b32_e32 v1, exec_lo, v1
	v_not_b32_e32 v4, v6
	v_ashrrev_i32_e32 v3, 31, v3
	v_xor_b32_e32 v2, vcc_lo, v2
	v_cmp_gt_i32_e32 vcc_lo, 0, v6
	v_and_b32_e32 v1, v1, v56
	v_not_b32_e32 v6, v7
	v_ashrrev_i32_e32 v4, 31, v4
	v_xor_b32_e32 v3, s17, v3
	v_cmp_gt_i32_e64 s17, 0, v7
	v_and_b32_e32 v1, v1, v2
	v_not_b32_e32 v2, v55
	v_ashrrev_i32_e32 v6, 31, v6
	v_xor_b32_e32 v4, vcc_lo, v4
	v_cmp_gt_i32_e32 vcc_lo, 0, v55
	v_and_b32_e32 v1, v1, v3
	v_not_b32_e32 v3, v5
	v_ashrrev_i32_e32 v2, 31, v2
	v_xor_b32_e32 v6, s17, v6
	v_lshlrev_b32_e32 v0, 2, v0
	v_and_b32_e32 v1, v1, v4
	v_cmp_gt_i32_e64 s17, 0, v5
	v_ashrrev_i32_e32 v3, 31, v3
	v_xor_b32_e32 v2, vcc_lo, v2
	v_add_lshl_u32 v4, v0, v40, 2
	v_and_b32_e32 v1, v1, v6
	s_delay_alu instid0(VALU_DEP_4) | instskip(SKIP_3) | instid1(VALU_DEP_2)
	v_xor_b32_e32 v0, s17, v3
	ds_load_b32 v55, v4 offset:16
	v_and_b32_e32 v1, v1, v2
	v_add_nc_u32_e32 v57, 16, v4
	; wave barrier
	v_and_b32_e32 v0, v1, v0
	s_delay_alu instid0(VALU_DEP_1) | instskip(SKIP_1) | instid1(VALU_DEP_2)
	v_mbcnt_lo_u32_b32 v56, v0, 0
	v_cmp_ne_u32_e64 s17, 0, v0
	v_cmp_eq_u32_e32 vcc_lo, 0, v56
	s_delay_alu instid0(VALU_DEP_2) | instskip(NEXT) | instid1(SALU_CYCLE_1)
	s_and_b32 s26, s17, vcc_lo
	s_and_saveexec_b32 s17, s26
	s_cbranch_execz .LBB41_7
; %bb.6:                                ;   in Loop: Header=BB41_3 Depth=1
	s_waitcnt lgkmcnt(0)
	v_bcnt_u32_b32 v0, v0, v55
	ds_store_b32 v57, v0
.LBB41_7:                               ;   in Loop: Header=BB41_3 Depth=1
	s_or_b32 exec_lo, exec_lo, s17
	v_lshrrev_b32_e32 v0, s22, v51
	; wave barrier
	s_delay_alu instid0(VALU_DEP_1) | instskip(NEXT) | instid1(VALU_DEP_1)
	v_and_b32_e32 v0, s25, v0
	v_and_b32_e32 v1, 1, v0
	v_lshlrev_b32_e32 v2, 30, v0
	v_lshlrev_b32_e32 v3, 29, v0
	;; [unrolled: 1-line block ×4, first 2 shown]
	v_add_co_u32 v1, s17, v1, -1
	s_delay_alu instid0(VALU_DEP_1)
	v_cndmask_b32_e64 v5, 0, 1, s17
	v_not_b32_e32 v59, v2
	v_cmp_gt_i32_e64 s17, 0, v2
	v_not_b32_e32 v2, v3
	v_lshlrev_b32_e32 v7, 26, v0
	v_cmp_ne_u32_e32 vcc_lo, 0, v5
	v_ashrrev_i32_e32 v59, 31, v59
	v_lshlrev_b32_e32 v58, 25, v0
	v_ashrrev_i32_e32 v2, 31, v2
	v_lshlrev_b32_e32 v5, 24, v0
	v_xor_b32_e32 v1, vcc_lo, v1
	v_cmp_gt_i32_e32 vcc_lo, 0, v3
	v_not_b32_e32 v3, v4
	v_xor_b32_e32 v59, s17, v59
	v_cmp_gt_i32_e64 s17, 0, v4
	v_and_b32_e32 v1, exec_lo, v1
	v_not_b32_e32 v4, v6
	v_ashrrev_i32_e32 v3, 31, v3
	v_xor_b32_e32 v2, vcc_lo, v2
	v_cmp_gt_i32_e32 vcc_lo, 0, v6
	v_and_b32_e32 v1, v1, v59
	v_not_b32_e32 v6, v7
	v_ashrrev_i32_e32 v4, 31, v4
	v_xor_b32_e32 v3, s17, v3
	v_cmp_gt_i32_e64 s17, 0, v7
	v_and_b32_e32 v1, v1, v2
	v_not_b32_e32 v2, v58
	v_ashrrev_i32_e32 v6, 31, v6
	v_xor_b32_e32 v4, vcc_lo, v4
	v_cmp_gt_i32_e32 vcc_lo, 0, v58
	v_and_b32_e32 v1, v1, v3
	v_not_b32_e32 v3, v5
	v_ashrrev_i32_e32 v2, 31, v2
	v_xor_b32_e32 v6, s17, v6
	v_lshlrev_b32_e32 v0, 2, v0
	v_and_b32_e32 v1, v1, v4
	v_cmp_gt_i32_e64 s17, 0, v5
	v_ashrrev_i32_e32 v3, 31, v3
	v_xor_b32_e32 v2, vcc_lo, v2
	v_add_lshl_u32 v4, v0, v40, 2
	v_and_b32_e32 v1, v1, v6
	s_delay_alu instid0(VALU_DEP_4) | instskip(SKIP_3) | instid1(VALU_DEP_2)
	v_xor_b32_e32 v0, s17, v3
	ds_load_b32 v58, v4 offset:16
	v_and_b32_e32 v1, v1, v2
	v_add_nc_u32_e32 v60, 16, v4
	; wave barrier
	v_and_b32_e32 v0, v1, v0
	s_delay_alu instid0(VALU_DEP_1) | instskip(SKIP_1) | instid1(VALU_DEP_2)
	v_mbcnt_lo_u32_b32 v59, v0, 0
	v_cmp_ne_u32_e64 s17, 0, v0
	v_cmp_eq_u32_e32 vcc_lo, 0, v59
	s_delay_alu instid0(VALU_DEP_2) | instskip(NEXT) | instid1(SALU_CYCLE_1)
	s_and_b32 s26, s17, vcc_lo
	s_and_saveexec_b32 s17, s26
	s_cbranch_execz .LBB41_9
; %bb.8:                                ;   in Loop: Header=BB41_3 Depth=1
	s_waitcnt lgkmcnt(0)
	v_bcnt_u32_b32 v0, v0, v58
	ds_store_b32 v60, v0
.LBB41_9:                               ;   in Loop: Header=BB41_3 Depth=1
	s_or_b32 exec_lo, exec_lo, s17
	v_lshrrev_b32_e32 v0, s22, v50
	; wave barrier
	s_delay_alu instid0(VALU_DEP_1) | instskip(NEXT) | instid1(VALU_DEP_1)
	v_and_b32_e32 v0, s25, v0
	v_and_b32_e32 v1, 1, v0
	v_lshlrev_b32_e32 v2, 30, v0
	v_lshlrev_b32_e32 v3, 29, v0
	;; [unrolled: 1-line block ×4, first 2 shown]
	v_add_co_u32 v1, s17, v1, -1
	s_delay_alu instid0(VALU_DEP_1)
	v_cndmask_b32_e64 v5, 0, 1, s17
	v_not_b32_e32 v62, v2
	v_cmp_gt_i32_e64 s17, 0, v2
	v_not_b32_e32 v2, v3
	v_lshlrev_b32_e32 v7, 26, v0
	v_cmp_ne_u32_e32 vcc_lo, 0, v5
	v_ashrrev_i32_e32 v62, 31, v62
	v_lshlrev_b32_e32 v61, 25, v0
	v_ashrrev_i32_e32 v2, 31, v2
	v_lshlrev_b32_e32 v5, 24, v0
	v_xor_b32_e32 v1, vcc_lo, v1
	v_cmp_gt_i32_e32 vcc_lo, 0, v3
	v_not_b32_e32 v3, v4
	v_xor_b32_e32 v62, s17, v62
	v_cmp_gt_i32_e64 s17, 0, v4
	v_and_b32_e32 v1, exec_lo, v1
	v_not_b32_e32 v4, v6
	v_ashrrev_i32_e32 v3, 31, v3
	v_xor_b32_e32 v2, vcc_lo, v2
	v_cmp_gt_i32_e32 vcc_lo, 0, v6
	v_and_b32_e32 v1, v1, v62
	v_not_b32_e32 v6, v7
	v_ashrrev_i32_e32 v4, 31, v4
	v_xor_b32_e32 v3, s17, v3
	v_cmp_gt_i32_e64 s17, 0, v7
	v_and_b32_e32 v1, v1, v2
	v_not_b32_e32 v2, v61
	v_ashrrev_i32_e32 v6, 31, v6
	v_xor_b32_e32 v4, vcc_lo, v4
	v_cmp_gt_i32_e32 vcc_lo, 0, v61
	v_and_b32_e32 v1, v1, v3
	v_not_b32_e32 v3, v5
	v_ashrrev_i32_e32 v2, 31, v2
	v_xor_b32_e32 v6, s17, v6
	v_lshlrev_b32_e32 v0, 2, v0
	v_and_b32_e32 v1, v1, v4
	v_cmp_gt_i32_e64 s17, 0, v5
	v_ashrrev_i32_e32 v3, 31, v3
	v_xor_b32_e32 v2, vcc_lo, v2
	v_add_lshl_u32 v4, v0, v40, 2
	v_and_b32_e32 v1, v1, v6
	s_delay_alu instid0(VALU_DEP_4) | instskip(SKIP_3) | instid1(VALU_DEP_2)
	v_xor_b32_e32 v0, s17, v3
	ds_load_b32 v61, v4 offset:16
	v_and_b32_e32 v1, v1, v2
	v_add_nc_u32_e32 v63, 16, v4
	; wave barrier
	v_and_b32_e32 v0, v1, v0
	s_delay_alu instid0(VALU_DEP_1) | instskip(SKIP_1) | instid1(VALU_DEP_2)
	v_mbcnt_lo_u32_b32 v62, v0, 0
	v_cmp_ne_u32_e64 s17, 0, v0
	v_cmp_eq_u32_e32 vcc_lo, 0, v62
	s_delay_alu instid0(VALU_DEP_2) | instskip(NEXT) | instid1(SALU_CYCLE_1)
	s_and_b32 s25, s17, vcc_lo
	s_and_saveexec_b32 s17, s25
	s_cbranch_execz .LBB41_11
; %bb.10:                               ;   in Loop: Header=BB41_3 Depth=1
	s_waitcnt lgkmcnt(0)
	v_bcnt_u32_b32 v0, v0, v61
	ds_store_b32 v63, v0
.LBB41_11:                              ;   in Loop: Header=BB41_3 Depth=1
	s_or_b32 exec_lo, exec_lo, s17
	; wave barrier
	s_waitcnt lgkmcnt(0)
	s_barrier
	buffer_gl0_inv
	ds_load_2addr_b64 v[4:7], v18 offset0:2 offset1:3
	ds_load_2addr_b64 v[0:3], v39 offset0:2 offset1:3
	s_waitcnt lgkmcnt(1)
	v_add_nc_u32_e32 v64, v5, v4
	s_delay_alu instid0(VALU_DEP_1) | instskip(SKIP_1) | instid1(VALU_DEP_1)
	v_add3_u32 v64, v64, v6, v7
	s_waitcnt lgkmcnt(0)
	v_add3_u32 v64, v64, v0, v1
	s_delay_alu instid0(VALU_DEP_1) | instskip(NEXT) | instid1(VALU_DEP_1)
	v_add3_u32 v3, v64, v2, v3
	v_mov_b32_dpp v64, v3 row_shr:1 row_mask:0xf bank_mask:0xf
	s_delay_alu instid0(VALU_DEP_1) | instskip(NEXT) | instid1(VALU_DEP_1)
	v_cndmask_b32_e64 v64, v64, 0, s11
	v_add_nc_u32_e32 v3, v64, v3
	s_delay_alu instid0(VALU_DEP_1) | instskip(NEXT) | instid1(VALU_DEP_1)
	v_mov_b32_dpp v64, v3 row_shr:2 row_mask:0xf bank_mask:0xf
	v_cndmask_b32_e64 v64, 0, v64, s12
	s_delay_alu instid0(VALU_DEP_1) | instskip(NEXT) | instid1(VALU_DEP_1)
	v_add_nc_u32_e32 v3, v3, v64
	v_mov_b32_dpp v64, v3 row_shr:4 row_mask:0xf bank_mask:0xf
	s_delay_alu instid0(VALU_DEP_1) | instskip(NEXT) | instid1(VALU_DEP_1)
	v_cndmask_b32_e64 v64, 0, v64, s13
	v_add_nc_u32_e32 v3, v3, v64
	s_delay_alu instid0(VALU_DEP_1) | instskip(NEXT) | instid1(VALU_DEP_1)
	v_mov_b32_dpp v64, v3 row_shr:8 row_mask:0xf bank_mask:0xf
	v_cndmask_b32_e64 v64, 0, v64, s14
	s_delay_alu instid0(VALU_DEP_1) | instskip(SKIP_3) | instid1(VALU_DEP_1)
	v_add_nc_u32_e32 v3, v3, v64
	ds_swizzle_b32 v64, v3 offset:swizzle(BROADCAST,32,15)
	s_waitcnt lgkmcnt(0)
	v_cndmask_b32_e64 v64, v64, 0, s15
	v_add_nc_u32_e32 v3, v3, v64
	s_and_saveexec_b32 s17, s16
	s_cbranch_execz .LBB41_13
; %bb.12:                               ;   in Loop: Header=BB41_3 Depth=1
	ds_store_b32 v41, v3
.LBB41_13:                              ;   in Loop: Header=BB41_3 Depth=1
	s_or_b32 exec_lo, exec_lo, s17
	s_waitcnt lgkmcnt(0)
	s_barrier
	buffer_gl0_inv
	s_and_saveexec_b32 s17, s7
	s_cbranch_execz .LBB41_15
; %bb.14:                               ;   in Loop: Header=BB41_3 Depth=1
	ds_load_b32 v64, v45
	s_waitcnt lgkmcnt(0)
	v_mov_b32_dpp v65, v64 row_shr:1 row_mask:0xf bank_mask:0xf
	s_delay_alu instid0(VALU_DEP_1) | instskip(NEXT) | instid1(VALU_DEP_1)
	v_cndmask_b32_e64 v65, v65, 0, s2
	v_add_nc_u32_e32 v64, v65, v64
	s_delay_alu instid0(VALU_DEP_1) | instskip(NEXT) | instid1(VALU_DEP_1)
	v_mov_b32_dpp v65, v64 row_shr:2 row_mask:0xf bank_mask:0xf
	v_cndmask_b32_e64 v65, 0, v65, s10
	s_delay_alu instid0(VALU_DEP_1)
	v_add_nc_u32_e32 v64, v64, v65
	ds_store_b32 v45, v64
.LBB41_15:                              ;   in Loop: Header=BB41_3 Depth=1
	s_or_b32 exec_lo, exec_lo, s17
	v_mov_b32_e32 v64, 0
	s_waitcnt lgkmcnt(0)
	s_barrier
	buffer_gl0_inv
	s_and_saveexec_b32 s17, s8
	s_cbranch_execz .LBB41_17
; %bb.16:                               ;   in Loop: Header=BB41_3 Depth=1
	ds_load_b32 v64, v43
.LBB41_17:                              ;   in Loop: Header=BB41_3 Depth=1
	s_or_b32 exec_lo, exec_lo, s17
	s_waitcnt lgkmcnt(0)
	v_add_nc_u32_e32 v3, v64, v3
	s_add_i32 s22, s22, 8
	s_delay_alu instid0(SALU_CYCLE_1) | instskip(SKIP_3) | instid1(VALU_DEP_1)
	s_cmp_ge_u32 s22, s23
	ds_bpermute_b32 v3, v42, v3
	s_waitcnt lgkmcnt(0)
	v_cndmask_b32_e64 v3, v3, v64, s6
	v_cndmask_b32_e64 v3, v3, 0, s9
	s_delay_alu instid0(VALU_DEP_1) | instskip(NEXT) | instid1(VALU_DEP_1)
	v_add_nc_u32_e32 v4, v3, v4
	v_add_nc_u32_e32 v5, v4, v5
	s_delay_alu instid0(VALU_DEP_1) | instskip(NEXT) | instid1(VALU_DEP_1)
	v_add_nc_u32_e32 v6, v5, v6
	v_add_nc_u32_e32 v64, v6, v7
	;; [unrolled: 3-line block ×3, first 2 shown]
	s_delay_alu instid0(VALU_DEP_1)
	v_add_nc_u32_e32 v1, v0, v2
	ds_store_2addr_b64 v18, v[3:4], v[5:6] offset0:2 offset1:3
	ds_store_2addr_b64 v39, v[64:65], v[0:1] offset0:2 offset1:3
	s_waitcnt lgkmcnt(0)
	s_barrier
	buffer_gl0_inv
	ds_load_b32 v0, v54
	ds_load_b32 v1, v57
	ds_load_b32 v2, v60
	ds_load_b32 v3, v63
	s_waitcnt lgkmcnt(0)
	v_add_nc_u32_e32 v60, v0, v53
	v_add3_u32 v57, v56, v55, v1
	v_add3_u32 v7, v59, v58, v2
	;; [unrolled: 1-line block ×3, first 2 shown]
	s_delay_alu instid0(VALU_DEP_4) | instskip(NEXT) | instid1(VALU_DEP_4)
	v_lshlrev_b32_e32 v53, 2, v60
	v_lshlrev_b32_e32 v54, 2, v57
	s_delay_alu instid0(VALU_DEP_4) | instskip(NEXT) | instid1(VALU_DEP_4)
	v_lshlrev_b32_e32 v55, 2, v7
	v_lshlrev_b32_e32 v56, 2, v6
	s_cbranch_scc0 .LBB41_2
; %bb.18:
                                        ; implicit-def: $vgpr3
                                        ; implicit-def: $vgpr1
                                        ; implicit-def: $vgpr5
                                        ; implicit-def: $vgpr4
                                        ; implicit-def: $sgpr24
.LBB41_19:
	v_lshlrev_b32_e32 v0, 2, v17
	s_barrier
	buffer_gl0_inv
	ds_store_b32 v53, v47
	ds_store_b32 v54, v52
	;; [unrolled: 1-line block ×4, first 2 shown]
	s_waitcnt lgkmcnt(0)
	s_barrier
	buffer_gl0_inv
	ds_load_2addr_b64 v[0:3], v0 offset1:1
	v_lshlrev_b32_e32 v9, 1, v60
	v_lshlrev_b32_e32 v10, 1, v57
	v_lshlrev_b32_e32 v7, 1, v7
	v_lshlrev_b32_e32 v6, 1, v6
	v_or_b32_e32 v4, 1, v17
	v_sub_nc_u32_e32 v9, v53, v9
	v_sub_nc_u32_e32 v10, v54, v10
	v_sub_nc_u32_e32 v7, v55, v7
	v_sub_nc_u32_e32 v6, v56, v6
	v_or_b32_e32 v39, 2, v17
	v_or_b32_e32 v5, 3, v17
	s_waitcnt lgkmcnt(0)
	s_barrier
	buffer_gl0_inv
	ds_store_b16 v9, v49
	ds_store_b16_d16_hi v10, v49
	ds_store_b16 v7, v48
	ds_store_b16_d16_hi v6, v48
	s_waitcnt lgkmcnt(0)
	s_mov_b32 s11, 0
	s_barrier
	s_branch .LBB41_21
.LBB41_20:
                                        ; implicit-def: $vgpr3
                                        ; implicit-def: $vgpr5
                                        ; implicit-def: $vgpr39
                                        ; implicit-def: $vgpr4
.LBB41_21:
	v_add_co_u32 v11, s6, s18, v37
	s_delay_alu instid0(VALU_DEP_1) | instskip(SKIP_1) | instid1(VALU_DEP_1)
	v_add_co_ci_u32_e64 v12, null, s19, 0, s6
	v_add_co_u32 v9, s6, s20, v38
	v_add_co_ci_u32_e64 v10, null, s21, 0, s6
	s_and_b32 vcc_lo, exec_lo, s11
	s_cbranch_vccz .LBB41_41
; %bb.22:
	ds_bpermute_b32 v0, v26, v36
	ds_bpermute_b32 v1, v26, v33
	ds_bpermute_b32 v3, v26, v36 offset:64
	ds_bpermute_b32 v4, v26, v33 offset:64
	ds_bpermute_b32 v5, v26, v32
	ds_bpermute_b32 v37, v26, v32 offset:64
	ds_bpermute_b32 v42, v26, v29 offset:64
	ds_bpermute_b32 v44, v26, v29
	s_mov_b32 s14, 0
	v_cmp_gt_i32_e32 vcc_lo, 0, v20
	s_mov_b32 s15, s14
	s_mov_b32 s12, s14
	;; [unrolled: 1-line block ×3, first 2 shown]
	ds_bpermute_b32 v2, v26, v35
	ds_bpermute_b32 v6, v26, v34
	;; [unrolled: 1-line block ×3, first 2 shown]
	s_waitcnt lgkmcnt(0)
	s_barrier
	buffer_gl0_inv
	s_load_b32 s0, s[0:1], 0x24
	ds_bpermute_b32 v7, v26, v30
	v_cndmask_b32_e64 v0, v0, v1, s5
	ds_bpermute_b32 v1, v28, v36
	ds_bpermute_b32 v36, v27, v36 offset:96
	v_and_b32_e32 v3, 0xffff, v3
	v_and_b32_e32 v4, 0xffff, v4
	v_bfi_b32 v5, 0xffff, v5, v0
	v_and_b32_e32 v37, 0xffff, v37
	ds_bpermute_b32 v38, v26, v31
	ds_bpermute_b32 v39, v28, v35
	v_cndmask_b32_e64 v3, v3, v4, s5
	v_cndmask_b32_e64 v0, v0, v5, s4
	ds_bpermute_b32 v4, v27, v33 offset:96
	v_and_b32_e32 v5, 0xffff, v42
	ds_bpermute_b32 v40, v28, v34
	v_cndmask_b32_e64 v3, v3, v37, s4
	v_bfi_b32 v33, 0xffff, v44, v0
	ds_bpermute_b32 v45, v26, v35 offset:64
	ds_bpermute_b32 v46, v26, v34 offset:64
	;; [unrolled: 1-line block ×3, first 2 shown]
	v_cndmask_b32_e64 v3, v3, v5, s3
	v_cndmask_b32_e64 v0, v0, v33, s3
	ds_bpermute_b32 v5, v26, v31 offset:64
	ds_bpermute_b32 v26, v28, v32
	ds_bpermute_b32 v32, v27, v32 offset:96
	s_waitcnt lgkmcnt(0)
	v_perm_b32 v33, v36, v3, 0x5040100
	ds_bpermute_b32 v41, v28, v30
	v_perm_b32 v1, v1, v0, 0x5040100
	ds_bpermute_b32 v43, v28, v31
	ds_bpermute_b32 v35, v27, v35 offset:96
	v_cndmask_b32_e64 v3, v3, v33, s2
	ds_bpermute_b32 v34, v27, v34 offset:96
	v_cndmask_b32_e64 v0, v0, v1, s2
	ds_bpermute_b32 v1, v27, v29 offset:96
	ds_bpermute_b32 v30, v27, v30 offset:96
	v_perm_b32 v4, v4, v3, 0x5040100
	ds_bpermute_b32 v31, v27, v31 offset:96
	v_cndmask_b32_e64 v2, v2, v6, s5
	v_perm_b32 v27, v48, v0, 0x5040100
	s_lshr_b32 s1, s0, 16
	v_cndmask_b32_e64 v3, v3, v4, s5
	ds_bpermute_b32 v28, v28, v29
	v_cndmask_b32_e64 v6, v39, v40, s5
	v_cndmask_b32_e64 v29, v45, v46, s5
	;; [unrolled: 1-line block ×3, first 2 shown]
	v_mad_u32_u24 v4, v25, s1, v24
	v_cndmask_b32_e64 v2, v2, v7, s4
	v_perm_b32 v7, v32, v3, 0x5040100
	s_and_b32 s0, s0, 0xffff
	v_perm_b32 v24, v26, v0, 0x5040100
	s_waitcnt lgkmcnt(7)
	v_cndmask_b32_e64 v25, v6, v41, s4
	v_cndmask_b32_e64 v26, v29, v47, s4
	;; [unrolled: 1-line block ×3, first 2 shown]
	v_mad_u64_u32 v[6:7], null, v4, s0, v[8:9]
	s_waitcnt lgkmcnt(4)
	v_cndmask_b32_e64 v33, v35, v34, s5
	v_cndmask_b32_e64 v24, v0, v24, s4
	s_waitcnt lgkmcnt(3)
	v_perm_b32 v4, v1, v29, 0x5040100
	v_cndmask_b32_e64 v1, v25, v43, s3
	v_cndmask_b32_e64 v0, v2, v38, s3
	s_waitcnt lgkmcnt(2)
	v_cndmask_b32_e64 v27, v33, v30, s4
	v_lshrrev_b32_e32 v25, 5, v6
	v_min_u32_e32 v6, 0x60, v23
	s_waitcnt lgkmcnt(0)
	v_perm_b32 v7, v28, v24, 0x5040100
	v_cndmask_b32_e64 v2, v26, v5, s3
	v_cndmask_b32_e64 v3, v27, v31, s3
	;; [unrolled: 1-line block ×3, first 2 shown]
	v_or_b32_e32 v6, 31, v6
	v_cndmask_b32_e64 v4, v24, v7, s3
	v_cmp_eq_u32_e64 s0, 0, v16
	v_cmp_lt_u32_e64 s1, 1, v16
	v_cmp_lt_u32_e64 s3, 3, v16
	v_cmp_eq_u32_e64 s6, v6, v8
	v_lshlrev_b32_e32 v6, 1, v22
	v_cmp_lt_u32_e64 s4, 7, v16
	v_cndmask_b32_e32 v7, v20, v14, vcc_lo
	v_cmp_eq_u32_e64 s5, 0, v15
	v_dual_mov_b32 v16, s13 :: v_dual_mov_b32 v15, s12
	v_and_b32_e32 v21, 0x7c, v21
	v_lshlrev_b32_e32 v22, 2, v22
	v_sub_nc_u32_e32 v6, 0, v6
	v_lshlrev_b32_e32 v20, 2, v7
	v_cmp_eq_u32_e64 s9, 0, v14
	v_cmp_lt_u32_e64 s11, 1, v13
	v_mov_b32_e32 v13, s14
	v_or_b32_e32 v24, 16, v18
	v_cmp_gt_u32_e64 s7, 4, v8
	v_cmp_lt_u32_e64 s8, 31, v8
	v_cmp_eq_u32_e64 s10, 0, v8
	v_add_nc_u32_e32 v8, -4, v21
	v_dual_mov_b32 v14, s15 :: v_dual_add_nc_u32 v19, v18, v19
	v_add_nc_u32_e32 v23, v22, v6
	s_branch .LBB41_24
.LBB41_23:                              ;   in Loop: Header=BB41_24 Depth=1
	v_lshlrev_b32_e32 v4, 2, v33
	v_lshlrev_b32_e32 v36, 1, v33
	;; [unrolled: 1-line block ×8, first 2 shown]
	s_barrier
	buffer_gl0_inv
	ds_store_b32 v4, v26
	ds_store_b32 v5, v31
	;; [unrolled: 1-line block ×4, first 2 shown]
	v_sub_nc_u32_e32 v4, v4, v36
	v_sub_nc_u32_e32 v5, v5, v37
	;; [unrolled: 1-line block ×4, first 2 shown]
	s_waitcnt lgkmcnt(0)
	s_barrier
	buffer_gl0_inv
	ds_load_2addr_b32 v[0:1], v22 offset1:32
	ds_load_2addr_b32 v[2:3], v22 offset0:64 offset1:96
	s_waitcnt lgkmcnt(0)
	s_barrier
	buffer_gl0_inv
	ds_store_b16 v4, v28
	ds_store_b16_d16_hi v5, v28
	ds_store_b16 v34, v27
	ds_store_b16_d16_hi v35, v27
	s_waitcnt lgkmcnt(0)
	s_barrier
	buffer_gl0_inv
	ds_load_u16 v4, v23
	ds_load_u16 v5, v23 offset:128
	s_add_i32 s14, s14, 8
	s_waitcnt lgkmcnt(1)
	ds_load_u16_d16_hi v4, v23 offset:64
	s_waitcnt lgkmcnt(1)
	ds_load_u16_d16_hi v5, v23 offset:192
	s_waitcnt lgkmcnt(0)
	s_barrier
	buffer_gl0_inv
	s_cbranch_execz .LBB41_40
.LBB41_24:                              ; =>This Inner Loop Header: Depth=1
	v_mov_b32_e32 v26, v0
	ds_store_2addr_b64 v18, v[13:14], v[15:16] offset0:2 offset1:3
	ds_store_2addr_b64 v24, v[13:14], v[15:16] offset0:2 offset1:3
	s_waitcnt lgkmcnt(0)
	s_barrier
	buffer_gl0_inv
	v_lshrrev_b32_e32 v6, s14, v26
	; wave barrier
	s_delay_alu instid0(VALU_DEP_1)
	v_lshlrev_b32_e32 v27, 30, v6
	v_bfe_u32 v0, v26, s14, 1
	v_lshlrev_b32_e32 v28, 29, v6
	v_lshlrev_b32_e32 v29, 28, v6
	;; [unrolled: 1-line block ×4, first 2 shown]
	v_add_co_u32 v0, s12, v0, -1
	s_delay_alu instid0(VALU_DEP_1) | instskip(SKIP_3) | instid1(VALU_DEP_4)
	v_cndmask_b32_e64 v7, 0, 1, s12
	v_cmp_gt_i32_e64 s12, 0, v27
	v_lshlrev_b32_e32 v32, 25, v6
	v_lshlrev_b32_e32 v6, 24, v6
	v_cmp_ne_u32_e32 vcc_lo, 0, v7
	v_not_b32_e32 v7, v27
	v_not_b32_e32 v27, v28
	v_xor_b32_e32 v0, vcc_lo, v0
	s_delay_alu instid0(VALU_DEP_3)
	v_ashrrev_i32_e32 v7, 31, v7
	v_cmp_gt_i32_e32 vcc_lo, 0, v28
	v_not_b32_e32 v28, v29
	v_ashrrev_i32_e32 v27, 31, v27
	v_and_b32_e32 v0, exec_lo, v0
	v_xor_b32_e32 v7, s12, v7
	v_cmp_gt_i32_e64 s12, 0, v29
	v_ashrrev_i32_e32 v28, 31, v28
	v_xor_b32_e32 v27, vcc_lo, v27
	s_delay_alu instid0(VALU_DEP_4) | instskip(SKIP_1) | instid1(VALU_DEP_4)
	v_and_b32_e32 v0, v0, v7
	v_not_b32_e32 v7, v31
	v_xor_b32_e32 v28, s12, v28
	v_cmp_gt_i32_e64 s12, 0, v31
	v_mov_b32_e32 v31, v1
	v_not_b32_e32 v29, v30
	v_cmp_gt_i32_e32 vcc_lo, 0, v30
	v_and_b32_e32 v0, v0, v27
	v_not_b32_e32 v27, v32
	v_ashrrev_i32_e32 v7, 31, v7
	v_ashrrev_i32_e32 v29, 31, v29
	v_bfe_u32 v1, v26, s14, 8
	v_and_b32_e32 v0, v0, v28
	v_not_b32_e32 v28, v6
	v_ashrrev_i32_e32 v27, 31, v27
	v_xor_b32_e32 v29, vcc_lo, v29
	v_cmp_gt_i32_e32 vcc_lo, 0, v32
	v_xor_b32_e32 v7, s12, v7
	v_cmp_gt_i32_e64 s12, 0, v6
	v_ashrrev_i32_e32 v6, 31, v28
	v_and_b32_e32 v0, v0, v29
	v_xor_b32_e32 v27, vcc_lo, v27
	v_lshl_add_u32 v1, v1, 2, v25
	v_mov_b32_e32 v29, v3
	v_xor_b32_e32 v6, s12, v6
	v_and_b32_e32 v0, v0, v7
	v_mov_b32_e32 v30, v2
	v_mov_b32_e32 v28, v4
	v_lshl_add_u32 v33, v1, 2, 16
	s_delay_alu instid0(VALU_DEP_4) | instskip(NEXT) | instid1(VALU_DEP_1)
	v_dual_mov_b32 v27, v5 :: v_dual_and_b32 v0, v0, v27
	v_and_b32_e32 v0, v0, v6
	s_delay_alu instid0(VALU_DEP_1) | instskip(SKIP_1) | instid1(VALU_DEP_2)
	v_mbcnt_lo_u32_b32 v32, v0, 0
	v_cmp_ne_u32_e64 s12, 0, v0
	v_cmp_eq_u32_e32 vcc_lo, 0, v32
	s_delay_alu instid0(VALU_DEP_2) | instskip(NEXT) | instid1(SALU_CYCLE_1)
	s_and_b32 s13, s12, vcc_lo
	s_and_saveexec_b32 s12, s13
	s_cbranch_execz .LBB41_26
; %bb.25:                               ;   in Loop: Header=BB41_24 Depth=1
	v_bcnt_u32_b32 v0, v0, 0
	ds_store_b32 v33, v0
.LBB41_26:                              ;   in Loop: Header=BB41_24 Depth=1
	s_or_b32 exec_lo, exec_lo, s12
	v_bfe_u32 v0, v31, s14, 1
	v_lshrrev_b32_e32 v1, s14, v31
	; wave barrier
	s_delay_alu instid0(VALU_DEP_2) | instskip(NEXT) | instid1(VALU_DEP_1)
	v_add_co_u32 v0, s12, v0, -1
	v_cndmask_b32_e64 v2, 0, 1, s12
	s_delay_alu instid0(VALU_DEP_3)
	v_lshlrev_b32_e32 v3, 30, v1
	v_lshlrev_b32_e32 v4, 29, v1
	;; [unrolled: 1-line block ×4, first 2 shown]
	v_cmp_ne_u32_e32 vcc_lo, 0, v2
	v_not_b32_e32 v2, v3
	v_cmp_gt_i32_e64 s12, 0, v3
	v_not_b32_e32 v3, v4
	v_lshlrev_b32_e32 v7, 26, v1
	v_xor_b32_e32 v0, vcc_lo, v0
	v_ashrrev_i32_e32 v2, 31, v2
	v_cmp_gt_i32_e32 vcc_lo, 0, v4
	v_not_b32_e32 v4, v5
	v_ashrrev_i32_e32 v3, 31, v3
	v_and_b32_e32 v0, exec_lo, v0
	v_xor_b32_e32 v2, s12, v2
	v_cmp_gt_i32_e64 s12, 0, v5
	v_not_b32_e32 v5, v6
	v_ashrrev_i32_e32 v4, 31, v4
	v_xor_b32_e32 v3, vcc_lo, v3
	v_and_b32_e32 v0, v0, v2
	v_cmp_gt_i32_e32 vcc_lo, 0, v6
	v_not_b32_e32 v2, v7
	v_ashrrev_i32_e32 v5, 31, v5
	v_xor_b32_e32 v4, s12, v4
	v_and_b32_e32 v0, v0, v3
	v_lshlrev_b32_e32 v3, 25, v1
	v_cmp_gt_i32_e64 s12, 0, v7
	v_ashrrev_i32_e32 v2, 31, v2
	v_xor_b32_e32 v5, vcc_lo, v5
	v_and_b32_e32 v0, v0, v4
	v_not_b32_e32 v6, v3
	v_lshlrev_b32_e32 v1, 24, v1
	v_bfe_u32 v4, v31, s14, 8
	v_xor_b32_e32 v2, s12, v2
	v_and_b32_e32 v0, v0, v5
	v_cmp_gt_i32_e32 vcc_lo, 0, v3
	v_ashrrev_i32_e32 v3, 31, v6
	v_not_b32_e32 v5, v1
	v_lshlrev_b32_e32 v4, 2, v4
	v_and_b32_e32 v0, v0, v2
	s_delay_alu instid0(VALU_DEP_4) | instskip(SKIP_3) | instid1(VALU_DEP_4)
	v_xor_b32_e32 v2, vcc_lo, v3
	v_cmp_gt_i32_e32 vcc_lo, 0, v1
	v_ashrrev_i32_e32 v1, 31, v5
	v_add_lshl_u32 v3, v4, v25, 2
	v_and_b32_e32 v0, v0, v2
	s_delay_alu instid0(VALU_DEP_3) | instskip(SKIP_3) | instid1(VALU_DEP_1)
	v_xor_b32_e32 v1, vcc_lo, v1
	ds_load_b32 v34, v3 offset:16
	v_add_nc_u32_e32 v36, 16, v3
	; wave barrier
	v_and_b32_e32 v0, v0, v1
	v_mbcnt_lo_u32_b32 v35, v0, 0
	v_cmp_ne_u32_e64 s12, 0, v0
	s_delay_alu instid0(VALU_DEP_2) | instskip(NEXT) | instid1(VALU_DEP_2)
	v_cmp_eq_u32_e32 vcc_lo, 0, v35
	s_and_b32 s13, s12, vcc_lo
	s_delay_alu instid0(SALU_CYCLE_1)
	s_and_saveexec_b32 s12, s13
	s_cbranch_execz .LBB41_28
; %bb.27:                               ;   in Loop: Header=BB41_24 Depth=1
	s_waitcnt lgkmcnt(0)
	v_bcnt_u32_b32 v0, v0, v34
	ds_store_b32 v36, v0
.LBB41_28:                              ;   in Loop: Header=BB41_24 Depth=1
	s_or_b32 exec_lo, exec_lo, s12
	v_bfe_u32 v0, v30, s14, 1
	v_lshrrev_b32_e32 v1, s14, v30
	; wave barrier
	s_delay_alu instid0(VALU_DEP_2) | instskip(NEXT) | instid1(VALU_DEP_1)
	v_add_co_u32 v0, s12, v0, -1
	v_cndmask_b32_e64 v2, 0, 1, s12
	s_delay_alu instid0(VALU_DEP_3)
	v_lshlrev_b32_e32 v3, 30, v1
	v_lshlrev_b32_e32 v4, 29, v1
	;; [unrolled: 1-line block ×4, first 2 shown]
	v_cmp_ne_u32_e32 vcc_lo, 0, v2
	v_not_b32_e32 v2, v3
	v_cmp_gt_i32_e64 s12, 0, v3
	v_not_b32_e32 v3, v4
	v_lshlrev_b32_e32 v7, 26, v1
	v_xor_b32_e32 v0, vcc_lo, v0
	v_ashrrev_i32_e32 v2, 31, v2
	v_cmp_gt_i32_e32 vcc_lo, 0, v4
	v_not_b32_e32 v4, v5
	v_ashrrev_i32_e32 v3, 31, v3
	v_and_b32_e32 v0, exec_lo, v0
	v_xor_b32_e32 v2, s12, v2
	v_cmp_gt_i32_e64 s12, 0, v5
	v_not_b32_e32 v5, v6
	v_ashrrev_i32_e32 v4, 31, v4
	v_xor_b32_e32 v3, vcc_lo, v3
	v_and_b32_e32 v0, v0, v2
	v_cmp_gt_i32_e32 vcc_lo, 0, v6
	v_not_b32_e32 v2, v7
	v_ashrrev_i32_e32 v5, 31, v5
	v_xor_b32_e32 v4, s12, v4
	v_and_b32_e32 v0, v0, v3
	v_lshlrev_b32_e32 v3, 25, v1
	v_cmp_gt_i32_e64 s12, 0, v7
	v_ashrrev_i32_e32 v2, 31, v2
	v_xor_b32_e32 v5, vcc_lo, v5
	v_and_b32_e32 v0, v0, v4
	v_not_b32_e32 v6, v3
	v_lshlrev_b32_e32 v1, 24, v1
	v_bfe_u32 v4, v30, s14, 8
	v_xor_b32_e32 v2, s12, v2
	v_and_b32_e32 v0, v0, v5
	v_cmp_gt_i32_e32 vcc_lo, 0, v3
	v_ashrrev_i32_e32 v3, 31, v6
	v_not_b32_e32 v5, v1
	v_lshlrev_b32_e32 v4, 2, v4
	v_and_b32_e32 v0, v0, v2
	s_delay_alu instid0(VALU_DEP_4) | instskip(SKIP_3) | instid1(VALU_DEP_4)
	v_xor_b32_e32 v2, vcc_lo, v3
	v_cmp_gt_i32_e32 vcc_lo, 0, v1
	v_ashrrev_i32_e32 v1, 31, v5
	v_add_lshl_u32 v3, v4, v25, 2
	v_and_b32_e32 v0, v0, v2
	s_delay_alu instid0(VALU_DEP_3) | instskip(SKIP_3) | instid1(VALU_DEP_1)
	v_xor_b32_e32 v1, vcc_lo, v1
	ds_load_b32 v37, v3 offset:16
	v_add_nc_u32_e32 v39, 16, v3
	; wave barrier
	v_and_b32_e32 v0, v0, v1
	v_mbcnt_lo_u32_b32 v38, v0, 0
	v_cmp_ne_u32_e64 s12, 0, v0
	s_delay_alu instid0(VALU_DEP_2) | instskip(NEXT) | instid1(VALU_DEP_2)
	v_cmp_eq_u32_e32 vcc_lo, 0, v38
	s_and_b32 s13, s12, vcc_lo
	s_delay_alu instid0(SALU_CYCLE_1)
	s_and_saveexec_b32 s12, s13
	s_cbranch_execz .LBB41_30
; %bb.29:                               ;   in Loop: Header=BB41_24 Depth=1
	s_waitcnt lgkmcnt(0)
	v_bcnt_u32_b32 v0, v0, v37
	ds_store_b32 v39, v0
.LBB41_30:                              ;   in Loop: Header=BB41_24 Depth=1
	s_or_b32 exec_lo, exec_lo, s12
	v_bfe_u32 v0, v29, s14, 1
	v_lshrrev_b32_e32 v1, s14, v29
	; wave barrier
	s_delay_alu instid0(VALU_DEP_2) | instskip(NEXT) | instid1(VALU_DEP_1)
	v_add_co_u32 v0, s12, v0, -1
	v_cndmask_b32_e64 v2, 0, 1, s12
	s_delay_alu instid0(VALU_DEP_3)
	v_lshlrev_b32_e32 v3, 30, v1
	v_lshlrev_b32_e32 v4, 29, v1
	;; [unrolled: 1-line block ×4, first 2 shown]
	v_cmp_ne_u32_e32 vcc_lo, 0, v2
	v_not_b32_e32 v2, v3
	v_cmp_gt_i32_e64 s12, 0, v3
	v_not_b32_e32 v3, v4
	v_lshlrev_b32_e32 v7, 26, v1
	v_xor_b32_e32 v0, vcc_lo, v0
	v_ashrrev_i32_e32 v2, 31, v2
	v_cmp_gt_i32_e32 vcc_lo, 0, v4
	v_not_b32_e32 v4, v5
	v_ashrrev_i32_e32 v3, 31, v3
	v_and_b32_e32 v0, exec_lo, v0
	v_xor_b32_e32 v2, s12, v2
	v_cmp_gt_i32_e64 s12, 0, v5
	v_not_b32_e32 v5, v6
	v_ashrrev_i32_e32 v4, 31, v4
	v_xor_b32_e32 v3, vcc_lo, v3
	v_and_b32_e32 v0, v0, v2
	v_cmp_gt_i32_e32 vcc_lo, 0, v6
	v_not_b32_e32 v2, v7
	v_ashrrev_i32_e32 v5, 31, v5
	v_xor_b32_e32 v4, s12, v4
	v_and_b32_e32 v0, v0, v3
	v_lshlrev_b32_e32 v3, 25, v1
	v_cmp_gt_i32_e64 s12, 0, v7
	v_ashrrev_i32_e32 v2, 31, v2
	v_xor_b32_e32 v5, vcc_lo, v5
	v_and_b32_e32 v0, v0, v4
	v_not_b32_e32 v6, v3
	v_lshlrev_b32_e32 v1, 24, v1
	v_bfe_u32 v4, v29, s14, 8
	v_xor_b32_e32 v2, s12, v2
	v_and_b32_e32 v0, v0, v5
	v_cmp_gt_i32_e32 vcc_lo, 0, v3
	v_ashrrev_i32_e32 v3, 31, v6
	v_not_b32_e32 v5, v1
	v_lshlrev_b32_e32 v4, 2, v4
	v_and_b32_e32 v0, v0, v2
	s_delay_alu instid0(VALU_DEP_4) | instskip(SKIP_3) | instid1(VALU_DEP_4)
	v_xor_b32_e32 v2, vcc_lo, v3
	v_cmp_gt_i32_e32 vcc_lo, 0, v1
	v_ashrrev_i32_e32 v1, 31, v5
	v_add_lshl_u32 v3, v4, v25, 2
	v_and_b32_e32 v0, v0, v2
	s_delay_alu instid0(VALU_DEP_3) | instskip(SKIP_3) | instid1(VALU_DEP_1)
	v_xor_b32_e32 v1, vcc_lo, v1
	ds_load_b32 v40, v3 offset:16
	v_add_nc_u32_e32 v42, 16, v3
	; wave barrier
	v_and_b32_e32 v0, v0, v1
	v_mbcnt_lo_u32_b32 v41, v0, 0
	v_cmp_ne_u32_e64 s12, 0, v0
	s_delay_alu instid0(VALU_DEP_2) | instskip(NEXT) | instid1(VALU_DEP_2)
	v_cmp_eq_u32_e32 vcc_lo, 0, v41
	s_and_b32 s13, s12, vcc_lo
	s_delay_alu instid0(SALU_CYCLE_1)
	s_and_saveexec_b32 s12, s13
	s_cbranch_execz .LBB41_32
; %bb.31:                               ;   in Loop: Header=BB41_24 Depth=1
	s_waitcnt lgkmcnt(0)
	v_bcnt_u32_b32 v0, v0, v40
	ds_store_b32 v42, v0
.LBB41_32:                              ;   in Loop: Header=BB41_24 Depth=1
	s_or_b32 exec_lo, exec_lo, s12
	; wave barrier
	s_waitcnt lgkmcnt(0)
	s_barrier
	buffer_gl0_inv
	ds_load_2addr_b64 v[4:7], v18 offset0:2 offset1:3
	ds_load_2addr_b64 v[0:3], v24 offset0:2 offset1:3
	s_waitcnt lgkmcnt(1)
	v_add_nc_u32_e32 v43, v5, v4
	s_delay_alu instid0(VALU_DEP_1) | instskip(SKIP_1) | instid1(VALU_DEP_1)
	v_add3_u32 v43, v43, v6, v7
	s_waitcnt lgkmcnt(0)
	v_add3_u32 v43, v43, v0, v1
	s_delay_alu instid0(VALU_DEP_1) | instskip(NEXT) | instid1(VALU_DEP_1)
	v_add3_u32 v3, v43, v2, v3
	v_mov_b32_dpp v43, v3 row_shr:1 row_mask:0xf bank_mask:0xf
	s_delay_alu instid0(VALU_DEP_1) | instskip(NEXT) | instid1(VALU_DEP_1)
	v_cndmask_b32_e64 v43, v43, 0, s0
	v_add_nc_u32_e32 v3, v43, v3
	s_delay_alu instid0(VALU_DEP_1) | instskip(NEXT) | instid1(VALU_DEP_1)
	v_mov_b32_dpp v43, v3 row_shr:2 row_mask:0xf bank_mask:0xf
	v_cndmask_b32_e64 v43, 0, v43, s1
	s_delay_alu instid0(VALU_DEP_1) | instskip(NEXT) | instid1(VALU_DEP_1)
	v_add_nc_u32_e32 v3, v3, v43
	v_mov_b32_dpp v43, v3 row_shr:4 row_mask:0xf bank_mask:0xf
	s_delay_alu instid0(VALU_DEP_1) | instskip(NEXT) | instid1(VALU_DEP_1)
	v_cndmask_b32_e64 v43, 0, v43, s3
	v_add_nc_u32_e32 v3, v3, v43
	s_delay_alu instid0(VALU_DEP_1) | instskip(NEXT) | instid1(VALU_DEP_1)
	v_mov_b32_dpp v43, v3 row_shr:8 row_mask:0xf bank_mask:0xf
	v_cndmask_b32_e64 v43, 0, v43, s4
	s_delay_alu instid0(VALU_DEP_1) | instskip(SKIP_3) | instid1(VALU_DEP_1)
	v_add_nc_u32_e32 v3, v3, v43
	ds_swizzle_b32 v43, v3 offset:swizzle(BROADCAST,32,15)
	s_waitcnt lgkmcnt(0)
	v_cndmask_b32_e64 v43, v43, 0, s5
	v_add_nc_u32_e32 v3, v3, v43
	s_and_saveexec_b32 s12, s6
	s_cbranch_execz .LBB41_34
; %bb.33:                               ;   in Loop: Header=BB41_24 Depth=1
	ds_store_b32 v21, v3
.LBB41_34:                              ;   in Loop: Header=BB41_24 Depth=1
	s_or_b32 exec_lo, exec_lo, s12
	s_waitcnt lgkmcnt(0)
	s_barrier
	buffer_gl0_inv
	s_and_saveexec_b32 s12, s7
	s_cbranch_execz .LBB41_36
; %bb.35:                               ;   in Loop: Header=BB41_24 Depth=1
	ds_load_b32 v43, v19
	s_waitcnt lgkmcnt(0)
	v_mov_b32_dpp v44, v43 row_shr:1 row_mask:0xf bank_mask:0xf
	s_delay_alu instid0(VALU_DEP_1) | instskip(NEXT) | instid1(VALU_DEP_1)
	v_cndmask_b32_e64 v44, v44, 0, s2
	v_add_nc_u32_e32 v43, v44, v43
	s_delay_alu instid0(VALU_DEP_1) | instskip(NEXT) | instid1(VALU_DEP_1)
	v_mov_b32_dpp v44, v43 row_shr:2 row_mask:0xf bank_mask:0xf
	v_cndmask_b32_e64 v44, 0, v44, s11
	s_delay_alu instid0(VALU_DEP_1)
	v_add_nc_u32_e32 v43, v43, v44
	ds_store_b32 v19, v43
.LBB41_36:                              ;   in Loop: Header=BB41_24 Depth=1
	s_or_b32 exec_lo, exec_lo, s12
	v_mov_b32_e32 v43, 0
	s_waitcnt lgkmcnt(0)
	s_barrier
	buffer_gl0_inv
	s_and_saveexec_b32 s12, s8
	s_cbranch_execz .LBB41_38
; %bb.37:                               ;   in Loop: Header=BB41_24 Depth=1
	ds_load_b32 v43, v8
.LBB41_38:                              ;   in Loop: Header=BB41_24 Depth=1
	s_or_b32 exec_lo, exec_lo, s12
	s_waitcnt lgkmcnt(0)
	v_add_nc_u32_e32 v3, v43, v3
	s_cmp_gt_u32 s14, 23
	ds_bpermute_b32 v3, v20, v3
	s_waitcnt lgkmcnt(0)
	v_cndmask_b32_e64 v3, v3, v43, s9
	s_delay_alu instid0(VALU_DEP_1) | instskip(NEXT) | instid1(VALU_DEP_1)
	v_cndmask_b32_e64 v3, v3, 0, s10
	v_add_nc_u32_e32 v4, v3, v4
	s_delay_alu instid0(VALU_DEP_1) | instskip(NEXT) | instid1(VALU_DEP_1)
	v_add_nc_u32_e32 v5, v4, v5
	v_add_nc_u32_e32 v6, v5, v6
	s_delay_alu instid0(VALU_DEP_1) | instskip(NEXT) | instid1(VALU_DEP_1)
	v_add_nc_u32_e32 v43, v6, v7
	v_add_nc_u32_e32 v44, v43, v0
	s_delay_alu instid0(VALU_DEP_1) | instskip(NEXT) | instid1(VALU_DEP_1)
	v_add_nc_u32_e32 v0, v44, v1
	v_add_nc_u32_e32 v1, v0, v2
	ds_store_2addr_b64 v18, v[3:4], v[5:6] offset0:2 offset1:3
	ds_store_2addr_b64 v24, v[43:44], v[0:1] offset0:2 offset1:3
	s_waitcnt lgkmcnt(0)
	s_barrier
	buffer_gl0_inv
	ds_load_b32 v0, v33
	ds_load_b32 v1, v36
	;; [unrolled: 1-line block ×4, first 2 shown]
	s_waitcnt lgkmcnt(3)
	v_add_nc_u32_e32 v33, v0, v32
	s_waitcnt lgkmcnt(2)
	v_add3_u32 v32, v35, v34, v1
	s_waitcnt lgkmcnt(1)
	v_add3_u32 v7, v38, v37, v2
	;; [unrolled: 2-line block ×3, first 2 shown]
	s_cbranch_scc0 .LBB41_23
; %bb.39:
                                        ; implicit-def: $vgpr3
                                        ; implicit-def: $vgpr1
                                        ; implicit-def: $vgpr5
                                        ; implicit-def: $vgpr4
                                        ; implicit-def: $sgpr14
.LBB41_40:
	v_lshlrev_b32_e32 v8, 2, v33
	s_delay_alu instid0(VALU_DEP_2)
	v_lshlrev_b32_e32 v15, 2, v6
	v_lshlrev_b32_e32 v0, 2, v17
	;; [unrolled: 1-line block ×4, first 2 shown]
	s_barrier
	buffer_gl0_inv
	ds_store_b32 v8, v26
	ds_store_b32 v13, v31
	;; [unrolled: 1-line block ×4, first 2 shown]
	s_waitcnt lgkmcnt(0)
	s_barrier
	buffer_gl0_inv
	ds_load_2addr_b64 v[0:3], v0 offset1:1
	v_lshlrev_b32_e32 v16, 1, v33
	v_lshlrev_b32_e32 v18, 1, v32
	;; [unrolled: 1-line block ×4, first 2 shown]
	v_or_b32_e32 v4, 1, v17
	v_sub_nc_u32_e32 v8, v8, v16
	v_sub_nc_u32_e32 v13, v13, v18
	;; [unrolled: 1-line block ×4, first 2 shown]
	v_or_b32_e32 v39, 2, v17
	v_or_b32_e32 v5, 3, v17
	s_waitcnt lgkmcnt(0)
	s_barrier
	buffer_gl0_inv
	ds_store_b16 v8, v28
	ds_store_b16_d16_hi v13, v28
	ds_store_b16 v7, v27
	ds_store_b16_d16_hi v6, v27
	s_waitcnt lgkmcnt(0)
	s_barrier
.LBB41_41:
	v_lshlrev_b32_e32 v6, 1, v17
	v_lshlrev_b32_e32 v7, 1, v39
	buffer_gl0_inv
	v_lshlrev_b32_e32 v4, 1, v4
	v_lshlrev_b32_e32 v5, 1, v5
	ds_load_u16 v6, v6
	ds_load_u16 v7, v7
	v_xor_b32_e32 v0, 0x80000000, v0
	v_xor_b32_e32 v1, 0x80000000, v1
	;; [unrolled: 1-line block ×4, first 2 shown]
	s_waitcnt lgkmcnt(1)
	ds_load_u16_d16_hi v6, v4
	s_waitcnt lgkmcnt(1)
	ds_load_u16_d16_hi v7, v5
	global_store_b128 v[11:12], v[0:3], off
	s_waitcnt lgkmcnt(0)
	global_store_b64 v[9:10], v[6:7], off
	s_nop 0
	s_sendmsg sendmsg(MSG_DEALLOC_VGPRS)
	s_endpgm
	.section	.rodata,"a",@progbits
	.p2align	6, 0x0
	.amdhsa_kernel _Z21sort_key_value_kernelILj128ELj4ELb0ELb0EisEvPT3_PT4_jj
		.amdhsa_group_segment_fixed_size 4112
		.amdhsa_private_segment_fixed_size 0
		.amdhsa_kernarg_size 280
		.amdhsa_user_sgpr_count 15
		.amdhsa_user_sgpr_dispatch_ptr 0
		.amdhsa_user_sgpr_queue_ptr 0
		.amdhsa_user_sgpr_kernarg_segment_ptr 1
		.amdhsa_user_sgpr_dispatch_id 0
		.amdhsa_user_sgpr_private_segment_size 0
		.amdhsa_wavefront_size32 1
		.amdhsa_uses_dynamic_stack 0
		.amdhsa_enable_private_segment 0
		.amdhsa_system_sgpr_workgroup_id_x 1
		.amdhsa_system_sgpr_workgroup_id_y 0
		.amdhsa_system_sgpr_workgroup_id_z 0
		.amdhsa_system_sgpr_workgroup_info 0
		.amdhsa_system_vgpr_workitem_id 2
		.amdhsa_next_free_vgpr 66
		.amdhsa_next_free_sgpr 28
		.amdhsa_reserve_vcc 1
		.amdhsa_float_round_mode_32 0
		.amdhsa_float_round_mode_16_64 0
		.amdhsa_float_denorm_mode_32 3
		.amdhsa_float_denorm_mode_16_64 3
		.amdhsa_dx10_clamp 1
		.amdhsa_ieee_mode 1
		.amdhsa_fp16_overflow 0
		.amdhsa_workgroup_processor_mode 1
		.amdhsa_memory_ordered 1
		.amdhsa_forward_progress 0
		.amdhsa_shared_vgpr_count 0
		.amdhsa_exception_fp_ieee_invalid_op 0
		.amdhsa_exception_fp_denorm_src 0
		.amdhsa_exception_fp_ieee_div_zero 0
		.amdhsa_exception_fp_ieee_overflow 0
		.amdhsa_exception_fp_ieee_underflow 0
		.amdhsa_exception_fp_ieee_inexact 0
		.amdhsa_exception_int_div_zero 0
	.end_amdhsa_kernel
	.section	.text._Z21sort_key_value_kernelILj128ELj4ELb0ELb0EisEvPT3_PT4_jj,"axG",@progbits,_Z21sort_key_value_kernelILj128ELj4ELb0ELb0EisEvPT3_PT4_jj,comdat
.Lfunc_end41:
	.size	_Z21sort_key_value_kernelILj128ELj4ELb0ELb0EisEvPT3_PT4_jj, .Lfunc_end41-_Z21sort_key_value_kernelILj128ELj4ELb0ELb0EisEvPT3_PT4_jj
                                        ; -- End function
	.section	.AMDGPU.csdata,"",@progbits
; Kernel info:
; codeLenInByte = 6976
; NumSgprs: 30
; NumVgprs: 66
; ScratchSize: 0
; MemoryBound: 0
; FloatMode: 240
; IeeeMode: 1
; LDSByteSize: 4112 bytes/workgroup (compile time only)
; SGPRBlocks: 3
; VGPRBlocks: 8
; NumSGPRsForWavesPerEU: 30
; NumVGPRsForWavesPerEU: 66
; Occupancy: 16
; WaveLimiterHint : 0
; COMPUTE_PGM_RSRC2:SCRATCH_EN: 0
; COMPUTE_PGM_RSRC2:USER_SGPR: 15
; COMPUTE_PGM_RSRC2:TRAP_HANDLER: 0
; COMPUTE_PGM_RSRC2:TGID_X_EN: 1
; COMPUTE_PGM_RSRC2:TGID_Y_EN: 0
; COMPUTE_PGM_RSRC2:TGID_Z_EN: 0
; COMPUTE_PGM_RSRC2:TIDIG_COMP_CNT: 2
	.section	.text._Z21sort_key_value_kernelILj64ELj2ELb0ELb1EfcEvPT3_PT4_jj,"axG",@progbits,_Z21sort_key_value_kernelILj64ELj2ELb0ELb1EfcEvPT3_PT4_jj,comdat
	.protected	_Z21sort_key_value_kernelILj64ELj2ELb0ELb1EfcEvPT3_PT4_jj ; -- Begin function _Z21sort_key_value_kernelILj64ELj2ELb0ELb1EfcEvPT3_PT4_jj
	.globl	_Z21sort_key_value_kernelILj64ELj2ELb0ELb1EfcEvPT3_PT4_jj
	.p2align	8
	.type	_Z21sort_key_value_kernelILj64ELj2ELb0ELb1EfcEvPT3_PT4_jj,@function
_Z21sort_key_value_kernelILj64ELj2ELb0ELb1EfcEvPT3_PT4_jj: ; @_Z21sort_key_value_kernelILj64ELj2ELb0ELb1EfcEvPT3_PT4_jj
; %bb.0:
	s_clause 0x1
	s_load_b128 s[4:7], s[0:1], 0x0
	s_load_b64 s[18:19], s[0:1], 0x10
	v_and_b32_e32 v8, 0x3ff, v0
	s_mov_b32 s13, 0
	s_lshl_b32 s12, s15, 7
	v_mbcnt_lo_u32_b32 v13, -1, 0
	s_lshl_b64 s[2:3], s[12:13], 2
	v_lshlrev_b32_e32 v25, 3, v8
	v_lshlrev_b32_e32 v17, 1, v8
	v_bfe_u32 v15, v0, 10, 10
	v_and_b32_e32 v4, 1, v13
	v_lshlrev_b32_e32 v5, 1, v13
	v_bfe_u32 v16, v0, 20, 10
	v_and_b32_e32 v23, 15, v13
	v_and_b32_e32 v21, 16, v13
	v_add_nc_u32_e32 v14, -1, v13
	v_and_b32_e32 v26, 60, v5
	v_lshlrev_b32_e32 v18, 5, v8
	v_and_b32_e32 v24, 0x3e0, v8
	v_lshrrev_b32_e32 v22, 3, v8
	s_waitcnt lgkmcnt(0)
	s_add_u32 s14, s4, s2
	s_addc_u32 s15, s5, s3
	s_add_u32 s16, s6, s12
	global_load_b64 v[1:2], v25, s[14:15]
	s_addc_u32 s17, s7, 0
	v_cmp_eq_u32_e64 s2, 0, v4
	global_load_u16 v3, v17, s[16:17]
	s_cmp_lg_u32 s18, 0
	v_cmp_eq_u32_e64 s3, 0, v13
	s_cselect_b32 s7, -1, 0
	s_cmp_lg_u32 s19, 32
	v_cmp_gt_u32_e64 s4, 2, v8
	s_cselect_b32 s8, -1, 0
	v_cmp_lt_u32_e64 s5, 31, v8
	v_cmp_eq_u32_e64 s6, 0, v8
	v_mul_i32_i24_e32 v20, 0xffffffe4, v8
	v_or_b32_e32 v27, 64, v26
	v_and_or_b32 v19, 0x7c0, v17, v13
	s_or_b32 s7, s7, s8
	s_waitcnt vmcnt(1)
	v_cmp_gt_i32_e32 vcc_lo, 0, v1
	s_waitcnt vmcnt(0)
	v_lshrrev_b16 v5, 8, v3
	v_and_b32_e32 v31, 0xff, v3
	v_cndmask_b32_e64 v0, 0x7fffffff, 0, vcc_lo
	v_cmp_gt_i32_e32 vcc_lo, 0, v2
	s_delay_alu instid0(VALU_DEP_4) | instskip(NEXT) | instid1(VALU_DEP_3)
	v_and_b32_e32 v28, 0xffff, v5
	v_xor_b32_e32 v29, v0, v1
	v_cndmask_b32_e64 v4, 0x7fffffff, 0, vcc_lo
	s_and_b32 vcc_lo, exec_lo, s7
	s_mov_b32 s7, -1
	s_delay_alu instid0(VALU_DEP_1)
	v_xor_b32_e32 v30, v4, v2
	s_cbranch_vccz .LBB42_16
; %bb.1:
	ds_bpermute_b32 v0, v26, v31
	ds_bpermute_b32 v1, v26, v28
	;; [unrolled: 1-line block ×4, first 2 shown]
	s_waitcnt lgkmcnt(0)
	s_barrier
	buffer_gl0_inv
	s_load_b32 s22, s[0:1], 0x24
	v_cmp_gt_i32_e32 vcc_lo, 0, v14
	s_mov_b32 s12, s13
	s_delay_alu instid0(SALU_CYCLE_1)
	v_dual_mov_b32 v9, s12 :: v_dual_lshlrev_b32 v34, 2, v19
	ds_bpermute_b32 v4, v26, v29
	ds_bpermute_b32 v5, v26, v30
	;; [unrolled: 1-line block ×4, first 2 shown]
	v_min_u32_e32 v11, 32, v24
	s_mov_b32 s20, s13
	s_mov_b32 s21, s13
	v_and_b32_e32 v33, 0x7c, v22
	v_dual_cndmask_b32 v35, v14, v13 :: v_dual_and_b32 v0, 0xff, v0
	v_dual_mov_b32 v10, s13 :: v_dual_and_b32 v1, 0xff, v1
	v_lshlrev_b16 v2, 8, v2
	v_or_b32_e32 v37, 31, v11
	v_or_b32_e32 v32, 8, v18
	s_delay_alu instid0(VALU_DEP_4)
	v_cndmask_b32_e64 v0, v1, v0, s2
	s_waitcnt lgkmcnt(0)
	s_lshr_b32 s23, s22, 16
	s_and_b32 s12, s22, 0xffff
	v_mad_u32_u24 v12, v16, s23, v15
	v_cmp_eq_u32_e64 s7, 0, v23
	v_or_b32_e32 v0, v0, v2
	v_lshlrev_b16 v2, 8, v3
	v_cmp_lt_u32_e64 s8, 1, v23
	v_cmp_lt_u32_e64 s9, 3, v23
	;; [unrolled: 1-line block ×3, first 2 shown]
	v_cndmask_b32_e64 v1, v1, v0, s2
	v_cmp_eq_u32_e64 s11, 0, v21
	v_lshlrev_b32_e32 v35, 2, v35
	v_add_nc_u32_e32 v38, v18, v20
	s_delay_alu instid0(VALU_DEP_4) | instskip(NEXT) | instid1(VALU_DEP_1)
	v_and_b32_e32 v1, 0xff, v1
	v_or_b32_e32 v1, v1, v2
	v_mad_u64_u32 v[2:3], null, v12, s12, v[8:9]
	v_dual_mov_b32 v11, s20 :: v_dual_mov_b32 v12, s21
	v_add_nc_u32_e32 v36, -4, v33
	s_delay_alu instid0(VALU_DEP_4)
	v_cndmask_b32_e64 v3, v1, v0, s2
	v_cmp_eq_u32_e64 s12, v37, v8
	v_cndmask_b32_e64 v0, v5, v4, s2
	v_cndmask_b32_e64 v1, v7, v6, s2
	v_lshrrev_b32_e32 v37, 5, v2
	v_and_b32_e32 v2, 0xffff, v3
	s_sub_i32 s20, s19, s18
	s_branch .LBB42_3
.LBB42_2:                               ;   in Loop: Header=BB42_3 Depth=1
	v_lshrrev_b16 v2, 8, v40
	s_barrier
	buffer_gl0_inv
	ds_store_b32 v6, v39
	ds_store_b32 v5, v41
	s_waitcnt lgkmcnt(0)
	s_barrier
	buffer_gl0_inv
	ds_load_2addr_b32 v[0:1], v34 offset1:32
	s_waitcnt lgkmcnt(0)
	s_barrier
	buffer_gl0_inv
	ds_store_b8 v3, v40
	ds_store_b8 v4, v2
	s_waitcnt lgkmcnt(0)
	s_barrier
	buffer_gl0_inv
	ds_load_u8 v2, v19 offset:32
	ds_load_u8 v7, v19
	s_add_i32 s20, s20, -8
	s_waitcnt lgkmcnt(0)
	s_barrier
	buffer_gl0_inv
	v_lshlrev_b16 v2, 8, v2
	s_delay_alu instid0(VALU_DEP_1) | instskip(NEXT) | instid1(VALU_DEP_1)
	v_or_b32_e32 v2, v7, v2
	v_and_b32_e32 v2, 0xffff, v2
	s_cbranch_execz .LBB42_15
.LBB42_3:                               ; =>This Inner Loop Header: Depth=1
	v_mov_b32_e32 v39, v0
	s_min_u32 s13, s20, 8
	ds_store_2addr_b64 v18, v[9:10], v[11:12] offset0:1 offset1:2
	ds_store_2addr_b64 v32, v[9:10], v[11:12] offset0:2 offset1:3
	s_lshl_b32 s13, -1, s13
	s_waitcnt lgkmcnt(0)
	v_cmp_ne_u32_e32 vcc_lo, 0x80000000, v39
	s_not_b32 s21, s13
	s_barrier
	buffer_gl0_inv
	v_cndmask_b32_e32 v0, 0x7fffffff, v39, vcc_lo
	; wave barrier
	s_delay_alu instid0(VALU_DEP_1) | instskip(NEXT) | instid1(VALU_DEP_1)
	v_lshrrev_b32_e32 v0, s18, v0
	v_and_b32_e32 v3, s21, v0
	s_delay_alu instid0(VALU_DEP_1)
	v_and_b32_e32 v0, 1, v3
	v_lshlrev_b32_e32 v4, 30, v3
	v_lshlrev_b32_e32 v5, 29, v3
	;; [unrolled: 1-line block ×4, first 2 shown]
	v_add_co_u32 v0, s13, v0, -1
	s_delay_alu instid0(VALU_DEP_1)
	v_cndmask_b32_e64 v7, 0, 1, s13
	v_not_b32_e32 v43, v4
	v_cmp_gt_i32_e64 s13, 0, v4
	v_not_b32_e32 v4, v5
	v_lshlrev_b32_e32 v41, 26, v3
	v_cmp_ne_u32_e32 vcc_lo, 0, v7
	v_ashrrev_i32_e32 v43, 31, v43
	s_delay_alu instid0(VALU_DEP_4)
	v_ashrrev_i32_e32 v4, 31, v4
	v_xor_b32_e32 v0, vcc_lo, v0
	v_cmp_gt_i32_e32 vcc_lo, 0, v5
	v_not_b32_e32 v5, v6
	v_xor_b32_e32 v43, s13, v43
	v_cmp_gt_i32_e64 s13, 0, v6
	v_and_b32_e32 v0, exec_lo, v0
	v_not_b32_e32 v6, v40
	v_ashrrev_i32_e32 v5, 31, v5
	v_xor_b32_e32 v4, vcc_lo, v4
	v_cmp_gt_i32_e32 vcc_lo, 0, v40
	v_and_b32_e32 v0, v0, v43
	v_not_b32_e32 v40, v41
	v_ashrrev_i32_e32 v6, 31, v6
	v_xor_b32_e32 v5, s13, v5
	v_cmp_gt_i32_e64 s13, 0, v41
	v_and_b32_e32 v0, v0, v4
	v_ashrrev_i32_e32 v40, 31, v40
	v_xor_b32_e32 v6, vcc_lo, v6
	s_delay_alu instid0(VALU_DEP_3) | instskip(NEXT) | instid1(VALU_DEP_3)
	v_dual_mov_b32 v41, v1 :: v_dual_and_b32 v0, v0, v5
	v_xor_b32_e32 v40, s13, v40
	s_delay_alu instid0(VALU_DEP_2) | instskip(NEXT) | instid1(VALU_DEP_1)
	v_and_b32_e32 v0, v0, v6
	v_and_b32_e32 v0, v0, v40
	v_mov_b32_e32 v40, v2
	v_lshlrev_b32_e32 v42, 25, v3
	v_lshlrev_b32_e32 v7, 24, v3
	v_lshl_add_u32 v1, v3, 1, v37
	s_delay_alu instid0(VALU_DEP_3) | instskip(SKIP_1) | instid1(VALU_DEP_4)
	v_not_b32_e32 v4, v42
	v_cmp_gt_i32_e32 vcc_lo, 0, v42
	v_not_b32_e32 v5, v7
	v_cmp_gt_i32_e64 s13, 0, v7
	v_lshl_add_u32 v43, v1, 2, 8
	v_ashrrev_i32_e32 v4, 31, v4
	s_delay_alu instid0(VALU_DEP_4) | instskip(NEXT) | instid1(VALU_DEP_2)
	v_ashrrev_i32_e32 v5, 31, v5
	v_xor_b32_e32 v4, vcc_lo, v4
	s_delay_alu instid0(VALU_DEP_2) | instskip(NEXT) | instid1(VALU_DEP_2)
	v_xor_b32_e32 v5, s13, v5
	v_and_b32_e32 v0, v0, v4
	s_delay_alu instid0(VALU_DEP_1) | instskip(NEXT) | instid1(VALU_DEP_1)
	v_and_b32_e32 v0, v0, v5
	v_mbcnt_lo_u32_b32 v42, v0, 0
	v_cmp_ne_u32_e64 s13, 0, v0
	s_delay_alu instid0(VALU_DEP_2) | instskip(NEXT) | instid1(VALU_DEP_2)
	v_cmp_eq_u32_e32 vcc_lo, 0, v42
	s_and_b32 s22, s13, vcc_lo
	s_delay_alu instid0(SALU_CYCLE_1)
	s_and_saveexec_b32 s13, s22
	s_cbranch_execz .LBB42_5
; %bb.4:                                ;   in Loop: Header=BB42_3 Depth=1
	v_bcnt_u32_b32 v0, v0, 0
	ds_store_b32 v43, v0
.LBB42_5:                               ;   in Loop: Header=BB42_3 Depth=1
	s_or_b32 exec_lo, exec_lo, s13
	v_cmp_ne_u32_e32 vcc_lo, 0x80000000, v41
	; wave barrier
	v_cndmask_b32_e32 v0, 0x7fffffff, v41, vcc_lo
	s_delay_alu instid0(VALU_DEP_1) | instskip(NEXT) | instid1(VALU_DEP_1)
	v_lshrrev_b32_e32 v0, s18, v0
	v_and_b32_e32 v0, s21, v0
	s_delay_alu instid0(VALU_DEP_1)
	v_and_b32_e32 v1, 1, v0
	v_lshlrev_b32_e32 v2, 30, v0
	v_lshlrev_b32_e32 v3, 29, v0
	;; [unrolled: 1-line block ×4, first 2 shown]
	v_add_co_u32 v1, s13, v1, -1
	s_delay_alu instid0(VALU_DEP_1)
	v_cndmask_b32_e64 v5, 0, 1, s13
	v_not_b32_e32 v45, v2
	v_cmp_gt_i32_e64 s13, 0, v2
	v_not_b32_e32 v2, v3
	v_lshlrev_b32_e32 v7, 26, v0
	v_cmp_ne_u32_e32 vcc_lo, 0, v5
	v_ashrrev_i32_e32 v45, 31, v45
	v_lshlrev_b32_e32 v44, 25, v0
	v_ashrrev_i32_e32 v2, 31, v2
	v_lshlrev_b32_e32 v5, 24, v0
	v_xor_b32_e32 v1, vcc_lo, v1
	v_cmp_gt_i32_e32 vcc_lo, 0, v3
	v_not_b32_e32 v3, v4
	v_xor_b32_e32 v45, s13, v45
	v_cmp_gt_i32_e64 s13, 0, v4
	v_and_b32_e32 v1, exec_lo, v1
	v_not_b32_e32 v4, v6
	v_ashrrev_i32_e32 v3, 31, v3
	v_xor_b32_e32 v2, vcc_lo, v2
	v_cmp_gt_i32_e32 vcc_lo, 0, v6
	v_and_b32_e32 v1, v1, v45
	v_not_b32_e32 v6, v7
	v_ashrrev_i32_e32 v4, 31, v4
	v_xor_b32_e32 v3, s13, v3
	v_cmp_gt_i32_e64 s13, 0, v7
	v_and_b32_e32 v1, v1, v2
	v_not_b32_e32 v2, v44
	v_ashrrev_i32_e32 v6, 31, v6
	v_xor_b32_e32 v4, vcc_lo, v4
	v_cmp_gt_i32_e32 vcc_lo, 0, v44
	v_and_b32_e32 v1, v1, v3
	v_not_b32_e32 v3, v5
	v_ashrrev_i32_e32 v2, 31, v2
	v_xor_b32_e32 v6, s13, v6
	v_lshlrev_b32_e32 v0, 1, v0
	v_and_b32_e32 v1, v1, v4
	v_cmp_gt_i32_e64 s13, 0, v5
	v_ashrrev_i32_e32 v3, 31, v3
	v_xor_b32_e32 v2, vcc_lo, v2
	v_add_lshl_u32 v4, v0, v37, 2
	v_and_b32_e32 v1, v1, v6
	s_delay_alu instid0(VALU_DEP_4) | instskip(SKIP_3) | instid1(VALU_DEP_2)
	v_xor_b32_e32 v0, s13, v3
	ds_load_b32 v44, v4 offset:8
	v_and_b32_e32 v1, v1, v2
	v_add_nc_u32_e32 v46, 8, v4
	; wave barrier
	v_and_b32_e32 v0, v1, v0
	s_delay_alu instid0(VALU_DEP_1) | instskip(SKIP_1) | instid1(VALU_DEP_2)
	v_mbcnt_lo_u32_b32 v45, v0, 0
	v_cmp_ne_u32_e64 s13, 0, v0
	v_cmp_eq_u32_e32 vcc_lo, 0, v45
	s_delay_alu instid0(VALU_DEP_2) | instskip(NEXT) | instid1(SALU_CYCLE_1)
	s_and_b32 s21, s13, vcc_lo
	s_and_saveexec_b32 s13, s21
	s_cbranch_execz .LBB42_7
; %bb.6:                                ;   in Loop: Header=BB42_3 Depth=1
	s_waitcnt lgkmcnt(0)
	v_bcnt_u32_b32 v0, v0, v44
	ds_store_b32 v46, v0
.LBB42_7:                               ;   in Loop: Header=BB42_3 Depth=1
	s_or_b32 exec_lo, exec_lo, s13
	; wave barrier
	s_waitcnt lgkmcnt(0)
	s_barrier
	buffer_gl0_inv
	ds_load_2addr_b64 v[4:7], v18 offset0:1 offset1:2
	ds_load_2addr_b64 v[0:3], v32 offset0:2 offset1:3
	s_waitcnt lgkmcnt(1)
	v_add_nc_u32_e32 v47, v5, v4
	s_delay_alu instid0(VALU_DEP_1) | instskip(SKIP_1) | instid1(VALU_DEP_1)
	v_add3_u32 v47, v47, v6, v7
	s_waitcnt lgkmcnt(0)
	v_add3_u32 v47, v47, v0, v1
	s_delay_alu instid0(VALU_DEP_1) | instskip(NEXT) | instid1(VALU_DEP_1)
	v_add3_u32 v3, v47, v2, v3
	v_mov_b32_dpp v47, v3 row_shr:1 row_mask:0xf bank_mask:0xf
	s_delay_alu instid0(VALU_DEP_1) | instskip(NEXT) | instid1(VALU_DEP_1)
	v_cndmask_b32_e64 v47, v47, 0, s7
	v_add_nc_u32_e32 v3, v47, v3
	s_delay_alu instid0(VALU_DEP_1) | instskip(NEXT) | instid1(VALU_DEP_1)
	v_mov_b32_dpp v47, v3 row_shr:2 row_mask:0xf bank_mask:0xf
	v_cndmask_b32_e64 v47, 0, v47, s8
	s_delay_alu instid0(VALU_DEP_1) | instskip(NEXT) | instid1(VALU_DEP_1)
	v_add_nc_u32_e32 v3, v3, v47
	v_mov_b32_dpp v47, v3 row_shr:4 row_mask:0xf bank_mask:0xf
	s_delay_alu instid0(VALU_DEP_1) | instskip(NEXT) | instid1(VALU_DEP_1)
	v_cndmask_b32_e64 v47, 0, v47, s9
	v_add_nc_u32_e32 v3, v3, v47
	s_delay_alu instid0(VALU_DEP_1) | instskip(NEXT) | instid1(VALU_DEP_1)
	v_mov_b32_dpp v47, v3 row_shr:8 row_mask:0xf bank_mask:0xf
	v_cndmask_b32_e64 v47, 0, v47, s10
	s_delay_alu instid0(VALU_DEP_1) | instskip(SKIP_3) | instid1(VALU_DEP_1)
	v_add_nc_u32_e32 v3, v3, v47
	ds_swizzle_b32 v47, v3 offset:swizzle(BROADCAST,32,15)
	s_waitcnt lgkmcnt(0)
	v_cndmask_b32_e64 v47, v47, 0, s11
	v_add_nc_u32_e32 v3, v3, v47
	s_and_saveexec_b32 s13, s12
	s_cbranch_execz .LBB42_9
; %bb.8:                                ;   in Loop: Header=BB42_3 Depth=1
	ds_store_b32 v33, v3
.LBB42_9:                               ;   in Loop: Header=BB42_3 Depth=1
	s_or_b32 exec_lo, exec_lo, s13
	s_waitcnt lgkmcnt(0)
	s_barrier
	buffer_gl0_inv
	s_and_saveexec_b32 s13, s4
	s_cbranch_execz .LBB42_11
; %bb.10:                               ;   in Loop: Header=BB42_3 Depth=1
	ds_load_b32 v47, v38
	s_waitcnt lgkmcnt(0)
	v_mov_b32_dpp v48, v47 row_shr:1 row_mask:0xf bank_mask:0xf
	s_delay_alu instid0(VALU_DEP_1) | instskip(NEXT) | instid1(VALU_DEP_1)
	v_cndmask_b32_e64 v48, v48, 0, s2
	v_add_nc_u32_e32 v47, v48, v47
	ds_store_b32 v38, v47
.LBB42_11:                              ;   in Loop: Header=BB42_3 Depth=1
	s_or_b32 exec_lo, exec_lo, s13
	v_mov_b32_e32 v47, 0
	s_waitcnt lgkmcnt(0)
	s_barrier
	buffer_gl0_inv
	s_and_saveexec_b32 s13, s5
	s_cbranch_execz .LBB42_13
; %bb.12:                               ;   in Loop: Header=BB42_3 Depth=1
	ds_load_b32 v47, v36
.LBB42_13:                              ;   in Loop: Header=BB42_3 Depth=1
	s_or_b32 exec_lo, exec_lo, s13
	s_waitcnt lgkmcnt(0)
	v_add_nc_u32_e32 v3, v47, v3
	s_add_i32 s18, s18, 8
	s_delay_alu instid0(SALU_CYCLE_1) | instskip(SKIP_3) | instid1(VALU_DEP_1)
	s_cmp_ge_u32 s18, s19
	ds_bpermute_b32 v3, v35, v3
	s_waitcnt lgkmcnt(0)
	v_cndmask_b32_e64 v3, v3, v47, s3
	v_cndmask_b32_e64 v3, v3, 0, s6
	s_delay_alu instid0(VALU_DEP_1) | instskip(NEXT) | instid1(VALU_DEP_1)
	v_add_nc_u32_e32 v4, v3, v4
	v_add_nc_u32_e32 v5, v4, v5
	s_delay_alu instid0(VALU_DEP_1) | instskip(NEXT) | instid1(VALU_DEP_1)
	v_add_nc_u32_e32 v6, v5, v6
	v_add_nc_u32_e32 v47, v6, v7
	;; [unrolled: 3-line block ×3, first 2 shown]
	s_delay_alu instid0(VALU_DEP_1)
	v_add_nc_u32_e32 v1, v0, v2
	ds_store_2addr_b64 v18, v[3:4], v[5:6] offset0:1 offset1:2
	ds_store_2addr_b64 v32, v[47:48], v[0:1] offset0:2 offset1:3
	s_waitcnt lgkmcnt(0)
	s_barrier
	buffer_gl0_inv
	ds_load_b32 v0, v43
	ds_load_b32 v1, v46
	s_waitcnt lgkmcnt(0)
	v_add_nc_u32_e32 v3, v0, v42
	v_add3_u32 v4, v45, v44, v1
	s_delay_alu instid0(VALU_DEP_2) | instskip(NEXT) | instid1(VALU_DEP_2)
	v_lshlrev_b32_e32 v6, 2, v3
	v_lshlrev_b32_e32 v5, 2, v4
	s_cbranch_scc0 .LBB42_2
; %bb.14:
                                        ; implicit-def: $vgpr1
                                        ; implicit-def: $vgpr2
                                        ; implicit-def: $sgpr20
.LBB42_15:
	v_lshlrev_b32_e32 v0, 2, v17
	s_barrier
	buffer_gl0_inv
	ds_store_b32 v6, v39
	ds_store_b32 v5, v41
	s_waitcnt lgkmcnt(0)
	s_barrier
	buffer_gl0_inv
	ds_load_b64 v[0:1], v0
	v_lshrrev_b16 v5, 8, v40
	v_or_b32_e32 v2, 1, v17
	s_waitcnt lgkmcnt(0)
	s_barrier
	buffer_gl0_inv
	ds_store_b8 v3, v40
	ds_store_b8 v4, v5
	s_waitcnt lgkmcnt(0)
	s_mov_b32 s7, 0
	s_barrier
	s_branch .LBB42_17
.LBB42_16:
                                        ; implicit-def: $vgpr2
                                        ; implicit-def: $vgpr0_vgpr1
.LBB42_17:
	v_add_co_u32 v9, s3, s14, v25
	s_delay_alu instid0(VALU_DEP_1) | instskip(SKIP_1) | instid1(VALU_DEP_1)
	v_add_co_ci_u32_e64 v10, null, s15, 0, s3
	v_add_co_u32 v11, s3, s16, v17
	v_add_co_ci_u32_e64 v12, null, s17, 0, s3
	s_and_b32 vcc_lo, exec_lo, s7
	s_cbranch_vccz .LBB42_33
; %bb.18:
	ds_bpermute_b32 v0, v26, v31
	ds_bpermute_b32 v1, v26, v28
	;; [unrolled: 1-line block ×3, first 2 shown]
	s_mov_b32 s12, 0
	v_cmp_gt_i32_e32 vcc_lo, 0, v14
	ds_bpermute_b32 v3, v27, v28
	s_waitcnt lgkmcnt(0)
	s_barrier
	buffer_gl0_inv
	s_load_b32 s14, s[0:1], 0x24
	s_mov_b32 s13, s12
	v_cmp_eq_u32_e64 s0, 0, v23
	v_cmp_lt_u32_e64 s1, 1, v23
	v_cmp_lt_u32_e64 s3, 3, v23
	;; [unrolled: 1-line block ×3, first 2 shown]
	v_min_u32_e32 v23, 32, v24
	v_cndmask_b32_e32 v24, v14, v13, vcc_lo
	v_cmp_eq_u32_e64 s8, 0, v13
	ds_bpermute_b32 v4, v26, v29
	ds_bpermute_b32 v5, v26, v30
	v_and_b32_e32 v0, 0xff, v0
	v_dual_mov_b32 v14, s13 :: v_dual_and_b32 v1, 0xff, v1
	v_lshlrev_b16 v2, 8, v2
	v_mov_b32_e32 v13, s12
	ds_bpermute_b32 v6, v27, v29
	v_cndmask_b32_e64 v0, v1, v0, s2
	ds_bpermute_b32 v7, v27, v30
	s_mov_b32 s10, s12
	s_mov_b32 s11, s12
	s_waitcnt lgkmcnt(0)
	s_lshr_b32 s15, s14, 16
	v_or_b32_e32 v0, v0, v2
	v_lshlrev_b16 v2, 8, v3
	v_mad_u32_u24 v15, v16, s15, v15
	s_and_b32 s13, s14, 0xffff
	v_cmp_eq_u32_e64 s5, 0, v21
	v_cndmask_b32_e64 v1, v1, v0, s2
	v_and_b32_e32 v21, 0x7c, v22
	v_or_b32_e32 v26, 31, v23
	v_or_b32_e32 v25, 8, v18
	v_cmp_gt_u32_e64 s6, 2, v8
	v_and_b32_e32 v1, 0xff, v1
	v_cmp_lt_u32_e64 s7, 31, v8
	v_cmp_eq_u32_e64 s9, 0, v8
	v_lshlrev_b32_e32 v22, 2, v19
	v_lshlrev_b32_e32 v23, 2, v24
	v_or_b32_e32 v1, v1, v2
	v_mad_u64_u32 v[2:3], null, v15, s13, v[8:9]
	v_dual_mov_b32 v16, s11 :: v_dual_mov_b32 v15, s10
	s_delay_alu instid0(VALU_DEP_3)
	v_cndmask_b32_e64 v3, v1, v0, s2
	v_add_nc_u32_e32 v24, -4, v21
	v_cmp_eq_u32_e64 s10, v26, v8
	v_cndmask_b32_e64 v0, v5, v4, s2
	v_cndmask_b32_e64 v1, v7, v6, s2
	v_lshrrev_b32_e32 v26, 5, v2
	v_and_b32_e32 v2, 0xffff, v3
	v_add_nc_u32_e32 v20, v18, v20
	s_branch .LBB42_20
.LBB42_19:                              ;   in Loop: Header=BB42_20 Depth=1
	s_delay_alu instid0(VALU_DEP_2) | instskip(NEXT) | instid1(VALU_DEP_2)
	v_lshlrev_b32_e32 v0, 2, v3
	v_lshlrev_b32_e32 v1, 2, v4
	v_lshrrev_b16 v2, 8, v27
	s_barrier
	buffer_gl0_inv
	ds_store_b32 v0, v8
	ds_store_b32 v1, v28
	s_waitcnt lgkmcnt(0)
	s_barrier
	buffer_gl0_inv
	ds_load_2addr_b32 v[0:1], v22 offset1:32
	s_waitcnt lgkmcnt(0)
	s_barrier
	buffer_gl0_inv
	ds_store_b8 v3, v27
	ds_store_b8 v4, v2
	s_waitcnt lgkmcnt(0)
	s_barrier
	buffer_gl0_inv
	ds_load_u8 v2, v19 offset:32
	ds_load_u8 v5, v19
	s_add_i32 s12, s12, 8
	s_waitcnt lgkmcnt(0)
	s_barrier
	buffer_gl0_inv
	v_lshlrev_b16 v2, 8, v2
	s_delay_alu instid0(VALU_DEP_1) | instskip(NEXT) | instid1(VALU_DEP_1)
	v_or_b32_e32 v2, v5, v2
	v_and_b32_e32 v2, 0xffff, v2
	s_cbranch_execz .LBB42_32
.LBB42_20:                              ; =>This Inner Loop Header: Depth=1
	v_mov_b32_e32 v8, v0
	ds_store_2addr_b64 v18, v[13:14], v[15:16] offset0:1 offset1:2
	ds_store_2addr_b64 v25, v[13:14], v[15:16] offset0:2 offset1:3
	s_waitcnt lgkmcnt(0)
	s_barrier
	buffer_gl0_inv
	v_cmp_ne_u32_e32 vcc_lo, 0x80000000, v8
	; wave barrier
	v_cndmask_b32_e32 v3, 0x7fffffff, v8, vcc_lo
	s_delay_alu instid0(VALU_DEP_1) | instskip(SKIP_1) | instid1(VALU_DEP_2)
	v_bfe_u32 v0, v3, s12, 1
	v_lshrrev_b32_e32 v4, s12, v3
	v_add_co_u32 v0, s11, v0, -1
	s_delay_alu instid0(VALU_DEP_1) | instskip(NEXT) | instid1(VALU_DEP_3)
	v_cndmask_b32_e64 v5, 0, 1, s11
	v_lshlrev_b32_e32 v6, 30, v4
	v_lshlrev_b32_e32 v7, 29, v4
	;; [unrolled: 1-line block ×4, first 2 shown]
	v_cmp_ne_u32_e32 vcc_lo, 0, v5
	v_not_b32_e32 v5, v6
	v_cmp_gt_i32_e64 s11, 0, v6
	v_not_b32_e32 v6, v7
	v_lshlrev_b32_e32 v29, 26, v4
	v_xor_b32_e32 v0, vcc_lo, v0
	v_ashrrev_i32_e32 v5, 31, v5
	v_cmp_gt_i32_e32 vcc_lo, 0, v7
	v_not_b32_e32 v7, v27
	v_ashrrev_i32_e32 v6, 31, v6
	v_and_b32_e32 v0, exec_lo, v0
	v_xor_b32_e32 v5, s11, v5
	v_cmp_gt_i32_e64 s11, 0, v27
	v_not_b32_e32 v27, v28
	v_ashrrev_i32_e32 v7, 31, v7
	v_xor_b32_e32 v6, vcc_lo, v6
	v_and_b32_e32 v0, v0, v5
	v_lshlrev_b32_e32 v30, 25, v4
	v_cmp_gt_i32_e32 vcc_lo, 0, v28
	v_mov_b32_e32 v28, v1
	v_not_b32_e32 v5, v29
	v_ashrrev_i32_e32 v27, 31, v27
	v_xor_b32_e32 v7, s11, v7
	v_and_b32_e32 v0, v0, v6
	v_lshlrev_b32_e32 v4, 24, v4
	v_cmp_gt_i32_e64 s11, 0, v29
	v_not_b32_e32 v6, v30
	v_ashrrev_i32_e32 v5, 31, v5
	v_xor_b32_e32 v27, vcc_lo, v27
	v_and_b32_e32 v0, v0, v7
	v_cmp_gt_i32_e32 vcc_lo, 0, v30
	v_not_b32_e32 v7, v4
	v_ashrrev_i32_e32 v6, 31, v6
	v_xor_b32_e32 v5, s11, v5
	v_and_b32_e32 v0, v0, v27
	v_cmp_gt_i32_e64 s11, 0, v4
	v_ashrrev_i32_e32 v4, 31, v7
	v_xor_b32_e32 v6, vcc_lo, v6
	v_bfe_u32 v1, v3, s12, 8
	v_dual_mov_b32 v27, v2 :: v_dual_and_b32 v0, v0, v5
	s_delay_alu instid0(VALU_DEP_4) | instskip(NEXT) | instid1(VALU_DEP_3)
	v_xor_b32_e32 v4, s11, v4
	v_lshl_add_u32 v1, v1, 1, v26
	s_delay_alu instid0(VALU_DEP_3) | instskip(NEXT) | instid1(VALU_DEP_2)
	v_and_b32_e32 v0, v0, v6
	v_lshl_add_u32 v30, v1, 2, 8
	s_delay_alu instid0(VALU_DEP_2) | instskip(NEXT) | instid1(VALU_DEP_1)
	v_and_b32_e32 v0, v0, v4
	v_mbcnt_lo_u32_b32 v29, v0, 0
	v_cmp_ne_u32_e64 s11, 0, v0
	s_delay_alu instid0(VALU_DEP_2) | instskip(NEXT) | instid1(VALU_DEP_2)
	v_cmp_eq_u32_e32 vcc_lo, 0, v29
	s_and_b32 s13, s11, vcc_lo
	s_delay_alu instid0(SALU_CYCLE_1)
	s_and_saveexec_b32 s11, s13
	s_cbranch_execz .LBB42_22
; %bb.21:                               ;   in Loop: Header=BB42_20 Depth=1
	v_bcnt_u32_b32 v0, v0, 0
	ds_store_b32 v30, v0
.LBB42_22:                              ;   in Loop: Header=BB42_20 Depth=1
	s_or_b32 exec_lo, exec_lo, s11
	v_cmp_ne_u32_e32 vcc_lo, 0x80000000, v28
	; wave barrier
	v_cndmask_b32_e32 v0, 0x7fffffff, v28, vcc_lo
	s_delay_alu instid0(VALU_DEP_1) | instskip(NEXT) | instid1(VALU_DEP_1)
	v_lshrrev_b32_e32 v2, s12, v0
	v_lshlrev_b32_e32 v5, 29, v2
	v_bfe_u32 v1, v0, s12, 1
	v_lshlrev_b32_e32 v4, 30, v2
	v_lshlrev_b32_e32 v6, 28, v2
	;; [unrolled: 1-line block ×4, first 2 shown]
	v_add_co_u32 v1, s11, v1, -1
	s_delay_alu instid0(VALU_DEP_1)
	v_cndmask_b32_e64 v3, 0, 1, s11
	v_cmp_gt_i32_e64 s11, 0, v4
	v_lshlrev_b32_e32 v32, 25, v2
	v_lshlrev_b32_e32 v2, 24, v2
	v_bfe_u32 v0, v0, s12, 8
	v_cmp_ne_u32_e32 vcc_lo, 0, v3
	v_not_b32_e32 v3, v4
	v_not_b32_e32 v4, v5
	s_delay_alu instid0(VALU_DEP_4) | instskip(SKIP_1) | instid1(VALU_DEP_4)
	v_lshlrev_b32_e32 v0, 1, v0
	v_xor_b32_e32 v1, vcc_lo, v1
	v_ashrrev_i32_e32 v3, 31, v3
	v_cmp_gt_i32_e32 vcc_lo, 0, v5
	v_not_b32_e32 v5, v6
	v_ashrrev_i32_e32 v4, 31, v4
	v_and_b32_e32 v1, exec_lo, v1
	v_xor_b32_e32 v3, s11, v3
	v_cmp_gt_i32_e64 s11, 0, v6
	v_not_b32_e32 v6, v7
	v_ashrrev_i32_e32 v5, 31, v5
	v_xor_b32_e32 v4, vcc_lo, v4
	v_and_b32_e32 v1, v1, v3
	v_cmp_gt_i32_e32 vcc_lo, 0, v7
	v_not_b32_e32 v3, v31
	v_ashrrev_i32_e32 v6, 31, v6
	v_xor_b32_e32 v5, s11, v5
	v_and_b32_e32 v1, v1, v4
	v_cmp_gt_i32_e64 s11, 0, v31
	v_not_b32_e32 v4, v32
	v_ashrrev_i32_e32 v3, 31, v3
	v_xor_b32_e32 v6, vcc_lo, v6
	v_and_b32_e32 v1, v1, v5
	v_cmp_gt_i32_e32 vcc_lo, 0, v32
	v_not_b32_e32 v5, v2
	v_ashrrev_i32_e32 v4, 31, v4
	v_xor_b32_e32 v3, s11, v3
	v_and_b32_e32 v1, v1, v6
	v_cmp_gt_i32_e64 s11, 0, v2
	v_ashrrev_i32_e32 v2, 31, v5
	v_xor_b32_e32 v4, vcc_lo, v4
	s_delay_alu instid0(VALU_DEP_4) | instskip(SKIP_1) | instid1(VALU_DEP_4)
	v_and_b32_e32 v1, v1, v3
	v_add_lshl_u32 v3, v0, v26, 2
	v_xor_b32_e32 v0, s11, v2
	s_delay_alu instid0(VALU_DEP_3) | instskip(SKIP_3) | instid1(VALU_DEP_1)
	v_and_b32_e32 v1, v1, v4
	ds_load_b32 v31, v3 offset:8
	v_add_nc_u32_e32 v33, 8, v3
	; wave barrier
	v_and_b32_e32 v0, v1, v0
	v_mbcnt_lo_u32_b32 v32, v0, 0
	v_cmp_ne_u32_e64 s11, 0, v0
	s_delay_alu instid0(VALU_DEP_2) | instskip(NEXT) | instid1(VALU_DEP_2)
	v_cmp_eq_u32_e32 vcc_lo, 0, v32
	s_and_b32 s13, s11, vcc_lo
	s_delay_alu instid0(SALU_CYCLE_1)
	s_and_saveexec_b32 s11, s13
	s_cbranch_execz .LBB42_24
; %bb.23:                               ;   in Loop: Header=BB42_20 Depth=1
	s_waitcnt lgkmcnt(0)
	v_bcnt_u32_b32 v0, v0, v31
	ds_store_b32 v33, v0
.LBB42_24:                              ;   in Loop: Header=BB42_20 Depth=1
	s_or_b32 exec_lo, exec_lo, s11
	; wave barrier
	s_waitcnt lgkmcnt(0)
	s_barrier
	buffer_gl0_inv
	ds_load_2addr_b64 v[4:7], v18 offset0:1 offset1:2
	ds_load_2addr_b64 v[0:3], v25 offset0:2 offset1:3
	s_waitcnt lgkmcnt(1)
	v_add_nc_u32_e32 v34, v5, v4
	s_delay_alu instid0(VALU_DEP_1) | instskip(SKIP_1) | instid1(VALU_DEP_1)
	v_add3_u32 v34, v34, v6, v7
	s_waitcnt lgkmcnt(0)
	v_add3_u32 v34, v34, v0, v1
	s_delay_alu instid0(VALU_DEP_1) | instskip(NEXT) | instid1(VALU_DEP_1)
	v_add3_u32 v3, v34, v2, v3
	v_mov_b32_dpp v34, v3 row_shr:1 row_mask:0xf bank_mask:0xf
	s_delay_alu instid0(VALU_DEP_1) | instskip(NEXT) | instid1(VALU_DEP_1)
	v_cndmask_b32_e64 v34, v34, 0, s0
	v_add_nc_u32_e32 v3, v34, v3
	s_delay_alu instid0(VALU_DEP_1) | instskip(NEXT) | instid1(VALU_DEP_1)
	v_mov_b32_dpp v34, v3 row_shr:2 row_mask:0xf bank_mask:0xf
	v_cndmask_b32_e64 v34, 0, v34, s1
	s_delay_alu instid0(VALU_DEP_1) | instskip(NEXT) | instid1(VALU_DEP_1)
	v_add_nc_u32_e32 v3, v3, v34
	v_mov_b32_dpp v34, v3 row_shr:4 row_mask:0xf bank_mask:0xf
	s_delay_alu instid0(VALU_DEP_1) | instskip(NEXT) | instid1(VALU_DEP_1)
	v_cndmask_b32_e64 v34, 0, v34, s3
	v_add_nc_u32_e32 v3, v3, v34
	s_delay_alu instid0(VALU_DEP_1) | instskip(NEXT) | instid1(VALU_DEP_1)
	v_mov_b32_dpp v34, v3 row_shr:8 row_mask:0xf bank_mask:0xf
	v_cndmask_b32_e64 v34, 0, v34, s4
	s_delay_alu instid0(VALU_DEP_1) | instskip(SKIP_3) | instid1(VALU_DEP_1)
	v_add_nc_u32_e32 v3, v3, v34
	ds_swizzle_b32 v34, v3 offset:swizzle(BROADCAST,32,15)
	s_waitcnt lgkmcnt(0)
	v_cndmask_b32_e64 v34, v34, 0, s5
	v_add_nc_u32_e32 v3, v3, v34
	s_and_saveexec_b32 s11, s10
	s_cbranch_execz .LBB42_26
; %bb.25:                               ;   in Loop: Header=BB42_20 Depth=1
	ds_store_b32 v21, v3
.LBB42_26:                              ;   in Loop: Header=BB42_20 Depth=1
	s_or_b32 exec_lo, exec_lo, s11
	s_waitcnt lgkmcnt(0)
	s_barrier
	buffer_gl0_inv
	s_and_saveexec_b32 s11, s6
	s_cbranch_execz .LBB42_28
; %bb.27:                               ;   in Loop: Header=BB42_20 Depth=1
	ds_load_b32 v34, v20
	s_waitcnt lgkmcnt(0)
	v_mov_b32_dpp v35, v34 row_shr:1 row_mask:0xf bank_mask:0xf
	s_delay_alu instid0(VALU_DEP_1) | instskip(NEXT) | instid1(VALU_DEP_1)
	v_cndmask_b32_e64 v35, v35, 0, s2
	v_add_nc_u32_e32 v34, v35, v34
	ds_store_b32 v20, v34
.LBB42_28:                              ;   in Loop: Header=BB42_20 Depth=1
	s_or_b32 exec_lo, exec_lo, s11
	v_mov_b32_e32 v34, 0
	s_waitcnt lgkmcnt(0)
	s_barrier
	buffer_gl0_inv
	s_and_saveexec_b32 s11, s7
	s_cbranch_execz .LBB42_30
; %bb.29:                               ;   in Loop: Header=BB42_20 Depth=1
	ds_load_b32 v34, v24
.LBB42_30:                              ;   in Loop: Header=BB42_20 Depth=1
	s_or_b32 exec_lo, exec_lo, s11
	s_waitcnt lgkmcnt(0)
	v_add_nc_u32_e32 v3, v34, v3
	s_cmp_gt_u32 s12, 23
	ds_bpermute_b32 v3, v23, v3
	s_waitcnt lgkmcnt(0)
	v_cndmask_b32_e64 v3, v3, v34, s8
	s_delay_alu instid0(VALU_DEP_1) | instskip(NEXT) | instid1(VALU_DEP_1)
	v_cndmask_b32_e64 v3, v3, 0, s9
	v_add_nc_u32_e32 v4, v3, v4
	s_delay_alu instid0(VALU_DEP_1) | instskip(NEXT) | instid1(VALU_DEP_1)
	v_add_nc_u32_e32 v5, v4, v5
	v_add_nc_u32_e32 v6, v5, v6
	s_delay_alu instid0(VALU_DEP_1) | instskip(NEXT) | instid1(VALU_DEP_1)
	v_add_nc_u32_e32 v34, v6, v7
	;; [unrolled: 3-line block ×3, first 2 shown]
	v_add_nc_u32_e32 v1, v0, v2
	ds_store_2addr_b64 v18, v[3:4], v[5:6] offset0:1 offset1:2
	ds_store_2addr_b64 v25, v[34:35], v[0:1] offset0:2 offset1:3
	s_waitcnt lgkmcnt(0)
	s_barrier
	buffer_gl0_inv
	ds_load_b32 v0, v30
	ds_load_b32 v1, v33
	s_waitcnt lgkmcnt(1)
	v_add_nc_u32_e32 v3, v0, v29
	s_waitcnt lgkmcnt(0)
	v_add3_u32 v4, v32, v31, v1
	s_cbranch_scc0 .LBB42_19
; %bb.31:
                                        ; implicit-def: $vgpr1
                                        ; implicit-def: $sgpr12
                                        ; implicit-def: $vgpr2
.LBB42_32:
	s_delay_alu instid0(VALU_DEP_2) | instskip(NEXT) | instid1(VALU_DEP_2)
	v_lshlrev_b32_e32 v0, 2, v3
	v_lshlrev_b32_e32 v1, 2, v4
	s_barrier
	buffer_gl0_inv
	ds_store_b32 v0, v8
	v_lshlrev_b32_e32 v0, 2, v17
	ds_store_b32 v1, v28
	s_waitcnt lgkmcnt(0)
	s_barrier
	buffer_gl0_inv
	ds_load_b64 v[0:1], v0
	v_lshrrev_b16 v5, 8, v27
	v_or_b32_e32 v2, 1, v17
	s_waitcnt lgkmcnt(0)
	s_barrier
	buffer_gl0_inv
	ds_store_b8 v3, v27
	ds_store_b8 v4, v5
	s_waitcnt lgkmcnt(0)
	s_barrier
.LBB42_33:
	buffer_gl0_inv
	ds_load_u8 v2, v2
	ds_load_u8 v3, v17
	v_cmp_gt_i32_e32 vcc_lo, 0, v0
	v_cndmask_b32_e64 v4, 0x7fffffff, 0, vcc_lo
	v_cmp_gt_i32_e32 vcc_lo, 0, v1
	s_delay_alu instid0(VALU_DEP_2) | instskip(SKIP_1) | instid1(VALU_DEP_1)
	v_xor_b32_e32 v0, v4, v0
	v_cndmask_b32_e64 v5, 0x7fffffff, 0, vcc_lo
	v_xor_b32_e32 v1, v5, v1
	s_waitcnt lgkmcnt(1)
	v_lshlrev_b16 v2, 8, v2
	s_waitcnt lgkmcnt(0)
	s_delay_alu instid0(VALU_DEP_1)
	v_or_b32_e32 v2, v3, v2
	global_store_b64 v[9:10], v[0:1], off
	global_store_b16 v[11:12], v2, off
	s_nop 0
	s_sendmsg sendmsg(MSG_DEALLOC_VGPRS)
	s_endpgm
	.section	.rodata,"a",@progbits
	.p2align	6, 0x0
	.amdhsa_kernel _Z21sort_key_value_kernelILj64ELj2ELb0ELb1EfcEvPT3_PT4_jj
		.amdhsa_group_segment_fixed_size 2064
		.amdhsa_private_segment_fixed_size 0
		.amdhsa_kernarg_size 280
		.amdhsa_user_sgpr_count 15
		.amdhsa_user_sgpr_dispatch_ptr 0
		.amdhsa_user_sgpr_queue_ptr 0
		.amdhsa_user_sgpr_kernarg_segment_ptr 1
		.amdhsa_user_sgpr_dispatch_id 0
		.amdhsa_user_sgpr_private_segment_size 0
		.amdhsa_wavefront_size32 1
		.amdhsa_uses_dynamic_stack 0
		.amdhsa_enable_private_segment 0
		.amdhsa_system_sgpr_workgroup_id_x 1
		.amdhsa_system_sgpr_workgroup_id_y 0
		.amdhsa_system_sgpr_workgroup_id_z 0
		.amdhsa_system_sgpr_workgroup_info 0
		.amdhsa_system_vgpr_workitem_id 2
		.amdhsa_next_free_vgpr 49
		.amdhsa_next_free_sgpr 24
		.amdhsa_reserve_vcc 1
		.amdhsa_float_round_mode_32 0
		.amdhsa_float_round_mode_16_64 0
		.amdhsa_float_denorm_mode_32 3
		.amdhsa_float_denorm_mode_16_64 3
		.amdhsa_dx10_clamp 1
		.amdhsa_ieee_mode 1
		.amdhsa_fp16_overflow 0
		.amdhsa_workgroup_processor_mode 1
		.amdhsa_memory_ordered 1
		.amdhsa_forward_progress 0
		.amdhsa_shared_vgpr_count 0
		.amdhsa_exception_fp_ieee_invalid_op 0
		.amdhsa_exception_fp_denorm_src 0
		.amdhsa_exception_fp_ieee_div_zero 0
		.amdhsa_exception_fp_ieee_overflow 0
		.amdhsa_exception_fp_ieee_underflow 0
		.amdhsa_exception_fp_ieee_inexact 0
		.amdhsa_exception_int_div_zero 0
	.end_amdhsa_kernel
	.section	.text._Z21sort_key_value_kernelILj64ELj2ELb0ELb1EfcEvPT3_PT4_jj,"axG",@progbits,_Z21sort_key_value_kernelILj64ELj2ELb0ELb1EfcEvPT3_PT4_jj,comdat
.Lfunc_end42:
	.size	_Z21sort_key_value_kernelILj64ELj2ELb0ELb1EfcEvPT3_PT4_jj, .Lfunc_end42-_Z21sort_key_value_kernelILj64ELj2ELb0ELb1EfcEvPT3_PT4_jj
                                        ; -- End function
	.section	.AMDGPU.csdata,"",@progbits
; Kernel info:
; codeLenInByte = 4328
; NumSgprs: 26
; NumVgprs: 49
; ScratchSize: 0
; MemoryBound: 0
; FloatMode: 240
; IeeeMode: 1
; LDSByteSize: 2064 bytes/workgroup (compile time only)
; SGPRBlocks: 3
; VGPRBlocks: 6
; NumSGPRsForWavesPerEU: 26
; NumVGPRsForWavesPerEU: 49
; Occupancy: 16
; WaveLimiterHint : 0
; COMPUTE_PGM_RSRC2:SCRATCH_EN: 0
; COMPUTE_PGM_RSRC2:USER_SGPR: 15
; COMPUTE_PGM_RSRC2:TRAP_HANDLER: 0
; COMPUTE_PGM_RSRC2:TGID_X_EN: 1
; COMPUTE_PGM_RSRC2:TGID_Y_EN: 0
; COMPUTE_PGM_RSRC2:TGID_Z_EN: 0
; COMPUTE_PGM_RSRC2:TIDIG_COMP_CNT: 2
	.section	.text._Z21sort_key_value_kernelILj255ELj1ELb0ELb0EhfEvPT3_PT4_jj,"axG",@progbits,_Z21sort_key_value_kernelILj255ELj1ELb0ELb0EhfEvPT3_PT4_jj,comdat
	.protected	_Z21sort_key_value_kernelILj255ELj1ELb0ELb0EhfEvPT3_PT4_jj ; -- Begin function _Z21sort_key_value_kernelILj255ELj1ELb0ELb0EhfEvPT3_PT4_jj
	.globl	_Z21sort_key_value_kernelILj255ELj1ELb0ELb0EhfEvPT3_PT4_jj
	.p2align	8
	.type	_Z21sort_key_value_kernelILj255ELj1ELb0ELb0EhfEvPT3_PT4_jj,@function
_Z21sort_key_value_kernelILj255ELj1ELb0ELb0EhfEvPT3_PT4_jj: ; @_Z21sort_key_value_kernelILj255ELj1ELb0ELb0EhfEvPT3_PT4_jj
; %bb.0:
	s_clause 0x1
	s_load_b128 s[4:7], s[0:1], 0x0
	s_load_b64 s[20:21], s[0:1], 0x10
	s_mul_i32 s2, s15, 0xff
	s_mov_b32 s3, 0
	v_lshlrev_b32_e32 v14, 2, v0
	v_lshlrev_b32_e32 v13, 5, v0
	v_mbcnt_lo_u32_b32 v18, -1, 0
	v_and_b32_e32 v20, 0xe0, v0
	v_lshrrev_b32_e32 v19, 3, v0
	s_waitcnt lgkmcnt(0)
	s_add_u32 s16, s4, s2
	s_addc_u32 s17, s5, 0
	s_lshl_b64 s[0:1], s[2:3], 2
	v_cmp_gt_u32_e64 s2, 0x3fc, v0
	s_add_u32 s18, s6, s0
	s_addc_u32 s19, s7, s1
	global_load_u8 v17, v0, s[16:17]
	global_load_b32 v16, v14, s[18:19]
	s_cmp_lg_u32 s20, 0
	v_cmp_gt_u32_e64 s3, 0x2fd, v0
	s_cselect_b32 s0, -1, 0
	s_cmp_lg_u32 s21, 8
	s_cselect_b32 s1, -1, 0
	s_delay_alu instid0(SALU_CYCLE_1)
	s_or_b32 s0, s0, s1
	v_cmp_lt_u32_e64 s1, 31, v0
	s_and_b32 vcc_lo, exec_lo, s0
	v_cmp_gt_u32_e64 s0, 8, v0
	s_cbranch_vccz .LBB43_17
; %bb.1:
	v_add_nc_u32_e32 v3, -1, v18
	v_and_b32_e32 v4, 16, v18
	v_dual_mov_b32 v12, 0 :: v_dual_and_b32 v1, 15, v18
	v_min_u32_e32 v2, 0xdf, v20
	v_mad_u32_u24 v15, v0, 3, v0
	s_delay_alu instid0(VALU_DEP_4)
	v_cmp_eq_u32_e64 s8, 0, v4
	s_waitcnt vmcnt(0)
	v_mov_b32_e32 v4, v16
	v_cmp_gt_i32_e32 vcc_lo, 0, v3
	v_cmp_eq_u32_e64 s4, 0, v1
	v_cmp_lt_u32_e64 s5, 1, v1
	v_cmp_lt_u32_e64 s6, 3, v1
	v_add_nc_u32_e32 v2, 31, v2
	v_dual_cndmask_b32 v3, v3, v18 :: v_dual_and_b32 v10, 28, v19
	v_cmp_lt_u32_e64 s7, 7, v1
	v_and_b32_e32 v1, 7, v18
	s_delay_alu instid0(VALU_DEP_4) | instskip(NEXT) | instid1(VALU_DEP_4)
	v_cmp_eq_u32_e64 s9, v2, v0
	v_lshlrev_b32_e32 v9, 2, v3
	v_cmp_eq_u32_e64 s10, 0, v18
	v_cmp_gt_u32_e64 s14, 0x1fe, v0
	v_cmp_eq_u32_e64 s11, 0, v1
	v_cmp_lt_u32_e64 s12, 1, v1
	v_cmp_lt_u32_e64 s13, 3, v1
	v_cmp_gt_u32_e64 s15, 0xff, v0
	v_add_nc_u32_e32 v21, 0x7f8, v15
	v_mov_b32_e32 v3, v17
	s_sub_i32 s22, s21, s20
	s_branch .LBB43_3
.LBB43_2:                               ;   in Loop: Header=BB43_3 Depth=1
	s_delay_alu instid0(VALU_DEP_1)
	v_add_nc_u32_e32 v4, v1, v2
	s_barrier
	buffer_gl0_inv
	ds_store_b8 v1, v22
	s_waitcnt lgkmcnt(0)
	s_barrier
	buffer_gl0_inv
	ds_load_u8 v3, v0
	s_waitcnt lgkmcnt(0)
	s_barrier
	buffer_gl0_inv
	ds_store_b32 v4, v11
	s_waitcnt lgkmcnt(0)
	s_barrier
	buffer_gl0_inv
	ds_load_b32 v4, v15
	s_add_i32 s22, s22, -4
	s_waitcnt lgkmcnt(0)
	s_barrier
	buffer_gl0_inv
	s_cbranch_execz .LBB43_16
.LBB43_3:                               ; =>This Inner Loop Header: Depth=1
	s_delay_alu instid0(VALU_DEP_1)
	v_dual_mov_b32 v22, v3 :: v_dual_mov_b32 v11, v4
	ds_store_2addr_b32 v15, v12, v12 offset1:255
	ds_store_2addr_b32 v21, v12, v12 offset1:255
	s_and_saveexec_b32 s23, s2
	s_cbranch_execz .LBB43_8
; %bb.4:                                ;   in Loop: Header=BB43_3 Depth=1
	ds_store_b32 v15, v12 offset:4080
	s_and_b32 exec_lo, exec_lo, s3
	s_cbranch_execz .LBB43_8
; %bb.5:                                ;   in Loop: Header=BB43_3 Depth=1
	ds_store_b32 v15, v12 offset:5100
	s_and_b32 exec_lo, exec_lo, s14
	;; [unrolled: 4-line block ×3, first 2 shown]
	s_cbranch_execz .LBB43_8
; %bb.7:                                ;   in Loop: Header=BB43_3 Depth=1
	ds_store_b32 v15, v12 offset:7140
.LBB43_8:                               ;   in Loop: Header=BB43_3 Depth=1
	s_or_b32 exec_lo, exec_lo, s23
	v_and_b32_e32 v1, 0xff, v22
	s_min_u32 s23, s22, 4
	s_delay_alu instid0(VALU_DEP_1) | instskip(NEXT) | instid1(VALU_DEP_1)
	v_lshrrev_b32_e32 v1, s20, v1
	v_bfe_u32 v1, v1, 0, s23
	s_delay_alu instid0(VALU_DEP_1) | instskip(SKIP_1) | instid1(VALU_DEP_2)
	v_and_b32_e32 v2, 7, v1
	v_lshrrev_b32_e32 v1, 3, v1
	v_mul_u32_u24_e32 v2, 0xff, v2
	s_delay_alu instid0(VALU_DEP_1) | instskip(NEXT) | instid1(VALU_DEP_1)
	v_add_lshl_u32 v2, v2, v0, 1
	v_add_lshl_u32 v23, v2, v1, 1
	ds_load_u16 v24, v23
	s_waitcnt lgkmcnt(0)
	v_add_nc_u16 v1, v24, 1
	ds_store_b16 v23, v1
	s_waitcnt lgkmcnt(0)
	s_barrier
	buffer_gl0_inv
	ds_load_2addr_b64 v[5:8], v13 offset1:1
	ds_load_2addr_b64 v[1:4], v13 offset0:2 offset1:3
	s_waitcnt lgkmcnt(1)
	v_add_nc_u32_e32 v25, v6, v5
	s_delay_alu instid0(VALU_DEP_1) | instskip(SKIP_1) | instid1(VALU_DEP_1)
	v_add3_u32 v25, v25, v7, v8
	s_waitcnt lgkmcnt(0)
	v_add3_u32 v25, v25, v1, v2
	s_delay_alu instid0(VALU_DEP_1) | instskip(NEXT) | instid1(VALU_DEP_1)
	v_add3_u32 v4, v25, v3, v4
	v_mov_b32_dpp v25, v4 row_shr:1 row_mask:0xf bank_mask:0xf
	s_delay_alu instid0(VALU_DEP_1) | instskip(NEXT) | instid1(VALU_DEP_1)
	v_cndmask_b32_e64 v25, v25, 0, s4
	v_add_nc_u32_e32 v4, v25, v4
	s_delay_alu instid0(VALU_DEP_1) | instskip(NEXT) | instid1(VALU_DEP_1)
	v_mov_b32_dpp v25, v4 row_shr:2 row_mask:0xf bank_mask:0xf
	v_cndmask_b32_e64 v25, 0, v25, s5
	s_delay_alu instid0(VALU_DEP_1) | instskip(NEXT) | instid1(VALU_DEP_1)
	v_add_nc_u32_e32 v4, v4, v25
	v_mov_b32_dpp v25, v4 row_shr:4 row_mask:0xf bank_mask:0xf
	s_delay_alu instid0(VALU_DEP_1) | instskip(NEXT) | instid1(VALU_DEP_1)
	v_cndmask_b32_e64 v25, 0, v25, s6
	v_add_nc_u32_e32 v4, v4, v25
	s_delay_alu instid0(VALU_DEP_1) | instskip(NEXT) | instid1(VALU_DEP_1)
	v_mov_b32_dpp v25, v4 row_shr:8 row_mask:0xf bank_mask:0xf
	v_cndmask_b32_e64 v25, 0, v25, s7
	s_delay_alu instid0(VALU_DEP_1) | instskip(SKIP_3) | instid1(VALU_DEP_1)
	v_add_nc_u32_e32 v4, v4, v25
	ds_swizzle_b32 v25, v4 offset:swizzle(BROADCAST,32,15)
	s_waitcnt lgkmcnt(0)
	v_cndmask_b32_e64 v25, v25, 0, s8
	v_add_nc_u32_e32 v4, v4, v25
	s_and_saveexec_b32 s23, s9
	s_cbranch_execz .LBB43_10
; %bb.9:                                ;   in Loop: Header=BB43_3 Depth=1
	ds_store_b32 v10, v4 offset:8160
.LBB43_10:                              ;   in Loop: Header=BB43_3 Depth=1
	s_or_b32 exec_lo, exec_lo, s23
	s_waitcnt lgkmcnt(0)
	s_barrier
	buffer_gl0_inv
	s_and_saveexec_b32 s23, s0
	s_cbranch_execz .LBB43_12
; %bb.11:                               ;   in Loop: Header=BB43_3 Depth=1
	ds_load_b32 v25, v14 offset:8160
	s_waitcnt lgkmcnt(0)
	v_mov_b32_dpp v26, v25 row_shr:1 row_mask:0xf bank_mask:0xf
	s_delay_alu instid0(VALU_DEP_1) | instskip(NEXT) | instid1(VALU_DEP_1)
	v_cndmask_b32_e64 v26, v26, 0, s11
	v_add_nc_u32_e32 v25, v26, v25
	s_delay_alu instid0(VALU_DEP_1) | instskip(NEXT) | instid1(VALU_DEP_1)
	v_mov_b32_dpp v26, v25 row_shr:2 row_mask:0xf bank_mask:0xf
	v_cndmask_b32_e64 v26, 0, v26, s12
	s_delay_alu instid0(VALU_DEP_1) | instskip(NEXT) | instid1(VALU_DEP_1)
	v_add_nc_u32_e32 v25, v25, v26
	v_mov_b32_dpp v26, v25 row_shr:4 row_mask:0xf bank_mask:0xf
	s_delay_alu instid0(VALU_DEP_1) | instskip(NEXT) | instid1(VALU_DEP_1)
	v_cndmask_b32_e64 v26, 0, v26, s13
	v_add_nc_u32_e32 v25, v25, v26
	ds_store_b32 v14, v25 offset:8160
.LBB43_12:                              ;   in Loop: Header=BB43_3 Depth=1
	s_or_b32 exec_lo, exec_lo, s23
	v_mov_b32_e32 v25, 0
	s_waitcnt lgkmcnt(0)
	s_barrier
	buffer_gl0_inv
	s_and_saveexec_b32 s23, s1
	s_cbranch_execz .LBB43_14
; %bb.13:                               ;   in Loop: Header=BB43_3 Depth=1
	ds_load_b32 v25, v10 offset:8156
.LBB43_14:                              ;   in Loop: Header=BB43_3 Depth=1
	s_or_b32 exec_lo, exec_lo, s23
	s_waitcnt lgkmcnt(0)
	v_add_nc_u32_e32 v4, v25, v4
	ds_load_b32 v26, v12 offset:8188
	s_add_i32 s20, s20, 4
	s_delay_alu instid0(SALU_CYCLE_1) | instskip(SKIP_3) | instid1(VALU_DEP_1)
	s_cmp_ge_u32 s20, s21
	ds_bpermute_b32 v4, v9, v4
	s_waitcnt lgkmcnt(0)
	v_cndmask_b32_e64 v4, v4, v25, s10
	v_lshl_add_u32 v4, v26, 16, v4
	s_delay_alu instid0(VALU_DEP_1) | instskip(NEXT) | instid1(VALU_DEP_1)
	v_add_nc_u32_e32 v5, v4, v5
	v_add_nc_u32_e32 v6, v5, v6
	s_delay_alu instid0(VALU_DEP_1) | instskip(NEXT) | instid1(VALU_DEP_1)
	v_add_nc_u32_e32 v7, v6, v7
	v_add_nc_u32_e32 v25, v7, v8
	;; [unrolled: 3-line block ×3, first 2 shown]
	s_delay_alu instid0(VALU_DEP_1)
	v_add_nc_u32_e32 v2, v1, v3
	ds_store_2addr_b64 v13, v[4:5], v[6:7] offset1:1
	ds_store_2addr_b64 v13, v[25:26], v[1:2] offset0:2 offset1:3
	s_waitcnt lgkmcnt(0)
	s_barrier
	buffer_gl0_inv
	ds_load_u16 v1, v23
	v_and_b32_e32 v2, 0xffff, v24
	s_waitcnt lgkmcnt(0)
	s_delay_alu instid0(VALU_DEP_1) | instskip(NEXT) | instid1(VALU_DEP_1)
	v_add_nc_u32_e32 v1, v1, v2
	v_mul_u32_u24_e32 v2, 3, v1
	s_cbranch_scc0 .LBB43_2
; %bb.15:
                                        ; implicit-def: $vgpr3
                                        ; implicit-def: $vgpr4
                                        ; implicit-def: $sgpr22
.LBB43_16:
	s_barrier
	buffer_gl0_inv
	ds_store_b8 v1, v22
	s_waitcnt lgkmcnt(0)
	s_barrier
	buffer_gl0_inv
	ds_load_u8 v3, v0
	v_add_nc_u32_e32 v1, v1, v2
	s_mov_b32 s0, 0
	s_waitcnt lgkmcnt(0)
	s_barrier
	buffer_gl0_inv
	ds_store_b32 v1, v11
	s_waitcnt lgkmcnt(0)
	s_barrier
	s_branch .LBB43_18
.LBB43_17:
	s_mov_b32 s0, -1
                                        ; implicit-def: $vgpr15
                                        ; implicit-def: $vgpr3
.LBB43_18:
	v_add_co_u32 v9, s1, s16, v0
	s_delay_alu instid0(VALU_DEP_1) | instskip(SKIP_1) | instid1(VALU_DEP_1)
	v_add_co_ci_u32_e64 v10, null, s17, 0, s1
	v_add_co_u32 v11, s1, s18, v14
	v_add_co_ci_u32_e64 v12, null, s19, 0, s1
	s_and_b32 vcc_lo, exec_lo, s0
	s_cbranch_vccz .LBB43_42
; %bb.19:
	v_mad_i32_i24 v1, 0xffffffe4, v0, v13
	v_mov_b32_e32 v2, 0
	v_cmp_gt_u32_e32 vcc_lo, 0x3fc, v0
	s_delay_alu instid0(VALU_DEP_3)
	v_add_nc_u32_e32 v3, 0x7f8, v1
	ds_store_2addr_b32 v1, v2, v2 offset1:255
	ds_store_2addr_b32 v3, v2, v2 offset1:255
	s_and_saveexec_b32 s1, vcc_lo
	s_cbranch_execz .LBB43_24
; %bb.20:
	v_mul_i32_i24_e32 v1, 0xffffffe4, v0
	v_cmp_gt_u32_e64 s0, 0x2fd, v0
	s_delay_alu instid0(VALU_DEP_2)
	v_add_nc_u32_e32 v1, v13, v1
	ds_store_b32 v1, v2 offset:4080
	s_and_b32 exec_lo, exec_lo, s0
	s_cbranch_execz .LBB43_24
; %bb.21:
	v_mov_b32_e32 v2, 0
	v_cmp_gt_u32_e64 s0, 0x1fe, v0
	ds_store_b32 v1, v2 offset:5100
	s_and_b32 exec_lo, exec_lo, s0
	s_cbranch_execz .LBB43_24
; %bb.22:
	v_cmp_gt_u32_e64 s0, 0xff, v0
	ds_store_b32 v1, v2 offset:6120
	s_and_b32 exec_lo, exec_lo, s0
	s_cbranch_execz .LBB43_24
; %bb.23:
	v_mov_b32_e32 v2, 0
	ds_store_b32 v1, v2 offset:7140
.LBB43_24:
	s_or_b32 exec_lo, exec_lo, s1
	s_waitcnt vmcnt(1)
	v_and_b32_e32 v1, 7, v17
	v_lshrrev_b16 v2, 2, v17
	v_min_u32_e32 v20, 0xdf, v20
	v_and_b32_e32 v24, 16, v18
	v_and_b32_e32 v19, 28, v19
	v_mad_u32_u24 v1, 0xff, v1, v0
	v_and_b32_e32 v2, 2, v2
	v_add_nc_u32_e32 v20, 31, v20
	v_cmp_eq_u32_e64 s8, 0, v24
	s_delay_alu instid0(VALU_DEP_3) | instskip(NEXT) | instid1(VALU_DEP_3)
	v_lshl_or_b32 v21, v1, 2, v2
	v_cmp_eq_u32_e64 s7, v20, v0
	ds_load_u16 v22, v21
	s_waitcnt lgkmcnt(0)
	v_add_nc_u16 v1, v22, 1
	ds_store_b16 v21, v1
	s_waitcnt vmcnt(0) lgkmcnt(0)
	s_barrier
	buffer_gl0_inv
	ds_load_2addr_b64 v[5:8], v13 offset1:1
	ds_load_2addr_b64 v[1:4], v13 offset0:2 offset1:3
	s_waitcnt lgkmcnt(1)
	v_add_nc_u32_e32 v15, v6, v5
	s_delay_alu instid0(VALU_DEP_1) | instskip(SKIP_1) | instid1(VALU_DEP_1)
	v_add3_u32 v15, v15, v7, v8
	s_waitcnt lgkmcnt(0)
	v_add3_u32 v15, v15, v1, v2
	s_delay_alu instid0(VALU_DEP_1) | instskip(SKIP_1) | instid1(VALU_DEP_2)
	v_add3_u32 v4, v15, v3, v4
	v_and_b32_e32 v15, 15, v18
	v_mov_b32_dpp v23, v4 row_shr:1 row_mask:0xf bank_mask:0xf
	s_delay_alu instid0(VALU_DEP_2) | instskip(SKIP_3) | instid1(VALU_DEP_4)
	v_cmp_eq_u32_e64 s0, 0, v15
	v_cmp_lt_u32_e64 s1, 1, v15
	v_cmp_lt_u32_e64 s3, 3, v15
	;; [unrolled: 1-line block ×3, first 2 shown]
	v_cndmask_b32_e64 v23, v23, 0, s0
	s_delay_alu instid0(VALU_DEP_1) | instskip(NEXT) | instid1(VALU_DEP_1)
	v_add_nc_u32_e32 v4, v23, v4
	v_mov_b32_dpp v23, v4 row_shr:2 row_mask:0xf bank_mask:0xf
	s_delay_alu instid0(VALU_DEP_1) | instskip(NEXT) | instid1(VALU_DEP_1)
	v_cndmask_b32_e64 v23, 0, v23, s1
	v_add_nc_u32_e32 v4, v4, v23
	s_delay_alu instid0(VALU_DEP_1) | instskip(NEXT) | instid1(VALU_DEP_1)
	v_mov_b32_dpp v23, v4 row_shr:4 row_mask:0xf bank_mask:0xf
	v_cndmask_b32_e64 v23, 0, v23, s3
	s_delay_alu instid0(VALU_DEP_1) | instskip(NEXT) | instid1(VALU_DEP_1)
	v_add_nc_u32_e32 v4, v4, v23
	v_mov_b32_dpp v23, v4 row_shr:8 row_mask:0xf bank_mask:0xf
	s_delay_alu instid0(VALU_DEP_1) | instskip(SKIP_1) | instid1(VALU_DEP_2)
	v_cndmask_b32_e64 v15, 0, v23, s5
	v_bfe_i32 v23, v18, 4, 1
	v_add_nc_u32_e32 v15, v4, v15
	ds_swizzle_b32 v4, v15 offset:swizzle(BROADCAST,32,15)
	s_waitcnt lgkmcnt(0)
	v_and_b32_e32 v23, v23, v4
	v_mul_u32_u24_e32 v4, 3, v0
	s_delay_alu instid0(VALU_DEP_2)
	v_add_nc_u32_e32 v20, v15, v23
	s_and_saveexec_b32 s2, s7
	s_cbranch_execz .LBB43_26
; %bb.25:
	ds_store_b32 v19, v20 offset:8160
.LBB43_26:
	s_or_b32 exec_lo, exec_lo, s2
	v_and_b32_e32 v23, 7, v18
	v_cmp_gt_u32_e64 s9, 8, v0
	v_add_nc_u32_e32 v15, v0, v4
	s_waitcnt lgkmcnt(0)
	s_barrier
	v_cmp_lt_u32_e64 s4, 1, v23
	v_cmp_eq_u32_e64 s6, 0, v23
	v_cmp_lt_u32_e64 s2, 3, v23
	buffer_gl0_inv
	s_and_saveexec_b32 s10, s9
	s_cbranch_execz .LBB43_28
; %bb.27:
	ds_load_b32 v4, v15 offset:8160
	s_waitcnt lgkmcnt(0)
	v_mov_b32_dpp v23, v4 row_shr:1 row_mask:0xf bank_mask:0xf
	s_delay_alu instid0(VALU_DEP_1) | instskip(NEXT) | instid1(VALU_DEP_1)
	v_cndmask_b32_e64 v23, v23, 0, s6
	v_add_nc_u32_e32 v4, v23, v4
	s_delay_alu instid0(VALU_DEP_1) | instskip(NEXT) | instid1(VALU_DEP_1)
	v_mov_b32_dpp v23, v4 row_shr:2 row_mask:0xf bank_mask:0xf
	v_cndmask_b32_e64 v23, 0, v23, s4
	s_delay_alu instid0(VALU_DEP_1) | instskip(NEXT) | instid1(VALU_DEP_1)
	v_add_nc_u32_e32 v4, v4, v23
	v_mov_b32_dpp v23, v4 row_shr:4 row_mask:0xf bank_mask:0xf
	s_delay_alu instid0(VALU_DEP_1) | instskip(NEXT) | instid1(VALU_DEP_1)
	v_cndmask_b32_e64 v23, 0, v23, s2
	v_add_nc_u32_e32 v4, v4, v23
	ds_store_b32 v15, v4 offset:8160
.LBB43_28:
	s_or_b32 exec_lo, exec_lo, s10
	v_cmp_lt_u32_e64 s10, 31, v0
	v_dual_mov_b32 v4, 0 :: v_dual_mov_b32 v23, 0
	s_waitcnt lgkmcnt(0)
	s_barrier
	buffer_gl0_inv
	s_and_saveexec_b32 s11, s10
	s_cbranch_execz .LBB43_30
; %bb.29:
	ds_load_b32 v23, v19 offset:8156
.LBB43_30:
	s_or_b32 exec_lo, exec_lo, s11
	v_add_nc_u32_e32 v24, -1, v18
	s_waitcnt lgkmcnt(0)
	v_add_nc_u32_e32 v25, v23, v20
	s_delay_alu instid0(VALU_DEP_2) | instskip(NEXT) | instid1(VALU_DEP_1)
	v_cmp_gt_i32_e64 s11, 0, v24
	v_cndmask_b32_e64 v24, v24, v18, s11
	v_cmp_eq_u32_e64 s11, 0, v18
	s_delay_alu instid0(VALU_DEP_2)
	v_lshlrev_b32_e32 v20, 2, v24
	ds_bpermute_b32 v24, v20, v25
	ds_load_b32 v25, v4 offset:8188
	s_waitcnt lgkmcnt(1)
	v_cndmask_b32_e64 v18, v24, v23, s11
	s_waitcnt lgkmcnt(0)
	s_delay_alu instid0(VALU_DEP_1) | instskip(NEXT) | instid1(VALU_DEP_1)
	v_lshl_add_u32 v23, v25, 16, v18
	v_add_nc_u32_e32 v24, v23, v5
	s_delay_alu instid0(VALU_DEP_1) | instskip(NEXT) | instid1(VALU_DEP_1)
	v_add_nc_u32_e32 v5, v24, v6
	v_add_nc_u32_e32 v6, v5, v7
	s_delay_alu instid0(VALU_DEP_1) | instskip(NEXT) | instid1(VALU_DEP_1)
	v_add_nc_u32_e32 v7, v6, v8
	;; [unrolled: 3-line block ×3, first 2 shown]
	v_add_nc_u32_e32 v2, v1, v3
	ds_store_2addr_b64 v13, v[23:24], v[5:6] offset1:1
	ds_store_2addr_b64 v13, v[7:8], v[1:2] offset0:2 offset1:3
	s_waitcnt lgkmcnt(0)
	s_barrier
	buffer_gl0_inv
	ds_load_u16 v1, v21
	v_and_b32_e32 v2, 0xffff, v22
	s_waitcnt lgkmcnt(0)
	s_barrier
	buffer_gl0_inv
	v_add_nc_u32_e32 v1, v1, v2
	ds_store_b8 v1, v17
	v_mad_u32_u24 v1, v1, 3, v1
	s_waitcnt lgkmcnt(0)
	s_barrier
	buffer_gl0_inv
	ds_load_u8 v17, v0
	s_waitcnt lgkmcnt(0)
	s_barrier
	buffer_gl0_inv
	ds_store_b32 v1, v16
	s_waitcnt lgkmcnt(0)
	s_barrier
	buffer_gl0_inv
	ds_load_b32 v16, v15
	v_add_nc_u32_e32 v1, 0x7f8, v14
	s_waitcnt lgkmcnt(0)
	s_barrier
	buffer_gl0_inv
	ds_store_2addr_b32 v14, v4, v4 offset1:255
	ds_store_2addr_b32 v1, v4, v4 offset1:255
	s_and_saveexec_b32 s12, vcc_lo
	s_cbranch_execz .LBB43_35
; %bb.31:
	v_mov_b32_e32 v1, 0
	v_cmp_gt_u32_e32 vcc_lo, 0x2fd, v0
	ds_store_b32 v14, v1 offset:4080
	s_and_b32 exec_lo, exec_lo, vcc_lo
	s_cbranch_execz .LBB43_35
; %bb.32:
	v_cmp_gt_u32_e32 vcc_lo, 0x1fe, v0
	ds_store_b32 v14, v1 offset:5100
	s_and_b32 exec_lo, exec_lo, vcc_lo
	s_cbranch_execz .LBB43_35
; %bb.33:
	v_mov_b32_e32 v1, 0
	v_cmp_gt_u32_e32 vcc_lo, 0xff, v0
	ds_store_b32 v14, v1 offset:6120
	s_and_b32 exec_lo, exec_lo, vcc_lo
	s_cbranch_execz .LBB43_35
; %bb.34:
	ds_store_b32 v14, v1 offset:7140
.LBB43_35:
	s_or_b32 exec_lo, exec_lo, s12
	v_lshrrev_b16 v1, 4, v17
	s_delay_alu instid0(VALU_DEP_1) | instskip(NEXT) | instid1(VALU_DEP_1)
	v_and_b32_e32 v1, 15, v1
	v_and_b32_e32 v1, 0xffff, v1
	s_delay_alu instid0(VALU_DEP_1) | instskip(SKIP_1) | instid1(VALU_DEP_2)
	v_and_b32_e32 v2, 7, v1
	v_lshrrev_b32_e32 v1, 2, v1
	v_mad_u32_u24 v2, 0xff, v2, v0
	s_delay_alu instid0(VALU_DEP_2) | instskip(NEXT) | instid1(VALU_DEP_1)
	v_and_b32_e32 v1, 2, v1
	v_lshl_or_b32 v14, v2, 2, v1
	ds_load_u16 v18, v14
	s_waitcnt lgkmcnt(0)
	v_add_nc_u16 v1, v18, 1
	ds_store_b16 v14, v1
	s_waitcnt lgkmcnt(0)
	s_barrier
	buffer_gl0_inv
	ds_load_2addr_b64 v[5:8], v13 offset1:1
	ds_load_2addr_b64 v[1:4], v13 offset0:2 offset1:3
	s_waitcnt lgkmcnt(1)
	v_add_nc_u32_e32 v21, v6, v5
	s_delay_alu instid0(VALU_DEP_1) | instskip(SKIP_1) | instid1(VALU_DEP_1)
	v_add3_u32 v21, v21, v7, v8
	s_waitcnt lgkmcnt(0)
	v_add3_u32 v21, v21, v1, v2
	s_delay_alu instid0(VALU_DEP_1) | instskip(NEXT) | instid1(VALU_DEP_1)
	v_add3_u32 v4, v21, v3, v4
	v_mov_b32_dpp v21, v4 row_shr:1 row_mask:0xf bank_mask:0xf
	s_delay_alu instid0(VALU_DEP_1) | instskip(NEXT) | instid1(VALU_DEP_1)
	v_cndmask_b32_e64 v21, v21, 0, s0
	v_add_nc_u32_e32 v4, v21, v4
	s_delay_alu instid0(VALU_DEP_1) | instskip(NEXT) | instid1(VALU_DEP_1)
	v_mov_b32_dpp v21, v4 row_shr:2 row_mask:0xf bank_mask:0xf
	v_cndmask_b32_e64 v21, 0, v21, s1
	s_delay_alu instid0(VALU_DEP_1) | instskip(NEXT) | instid1(VALU_DEP_1)
	v_add_nc_u32_e32 v4, v4, v21
	v_mov_b32_dpp v21, v4 row_shr:4 row_mask:0xf bank_mask:0xf
	s_delay_alu instid0(VALU_DEP_1) | instskip(NEXT) | instid1(VALU_DEP_1)
	v_cndmask_b32_e64 v21, 0, v21, s3
	v_add_nc_u32_e32 v4, v4, v21
	s_delay_alu instid0(VALU_DEP_1) | instskip(NEXT) | instid1(VALU_DEP_1)
	v_mov_b32_dpp v21, v4 row_shr:8 row_mask:0xf bank_mask:0xf
	v_cndmask_b32_e64 v21, 0, v21, s5
	s_delay_alu instid0(VALU_DEP_1) | instskip(SKIP_3) | instid1(VALU_DEP_1)
	v_add_nc_u32_e32 v4, v4, v21
	ds_swizzle_b32 v21, v4 offset:swizzle(BROADCAST,32,15)
	s_waitcnt lgkmcnt(0)
	v_cndmask_b32_e64 v21, v21, 0, s8
	v_add_nc_u32_e32 v4, v4, v21
	s_and_saveexec_b32 s0, s7
	s_cbranch_execz .LBB43_37
; %bb.36:
	ds_store_b32 v19, v4 offset:8160
.LBB43_37:
	s_or_b32 exec_lo, exec_lo, s0
	s_waitcnt lgkmcnt(0)
	s_barrier
	buffer_gl0_inv
	s_and_saveexec_b32 s0, s9
	s_cbranch_execz .LBB43_39
; %bb.38:
	ds_load_b32 v21, v15 offset:8160
	s_waitcnt lgkmcnt(0)
	v_mov_b32_dpp v22, v21 row_shr:1 row_mask:0xf bank_mask:0xf
	s_delay_alu instid0(VALU_DEP_1) | instskip(NEXT) | instid1(VALU_DEP_1)
	v_cndmask_b32_e64 v22, v22, 0, s6
	v_add_nc_u32_e32 v21, v22, v21
	s_delay_alu instid0(VALU_DEP_1) | instskip(NEXT) | instid1(VALU_DEP_1)
	v_mov_b32_dpp v22, v21 row_shr:2 row_mask:0xf bank_mask:0xf
	v_cndmask_b32_e64 v22, 0, v22, s4
	s_delay_alu instid0(VALU_DEP_1) | instskip(NEXT) | instid1(VALU_DEP_1)
	v_add_nc_u32_e32 v21, v21, v22
	v_mov_b32_dpp v22, v21 row_shr:4 row_mask:0xf bank_mask:0xf
	s_delay_alu instid0(VALU_DEP_1) | instskip(NEXT) | instid1(VALU_DEP_1)
	v_cndmask_b32_e64 v22, 0, v22, s2
	v_add_nc_u32_e32 v21, v21, v22
	ds_store_b32 v15, v21 offset:8160
.LBB43_39:
	s_or_b32 exec_lo, exec_lo, s0
	v_dual_mov_b32 v21, 0 :: v_dual_mov_b32 v22, 0
	s_waitcnt lgkmcnt(0)
	s_barrier
	buffer_gl0_inv
	s_and_saveexec_b32 s0, s10
	s_cbranch_execz .LBB43_41
; %bb.40:
	ds_load_b32 v22, v19 offset:8156
.LBB43_41:
	s_or_b32 exec_lo, exec_lo, s0
	s_waitcnt lgkmcnt(0)
	v_add_nc_u32_e32 v4, v22, v4
	ds_load_b32 v19, v21 offset:8188
	ds_bpermute_b32 v4, v20, v4
	s_waitcnt lgkmcnt(0)
	v_cndmask_b32_e64 v4, v4, v22, s11
	s_delay_alu instid0(VALU_DEP_1) | instskip(NEXT) | instid1(VALU_DEP_1)
	v_lshl_add_u32 v4, v19, 16, v4
	v_add_nc_u32_e32 v5, v4, v5
	s_delay_alu instid0(VALU_DEP_1) | instskip(NEXT) | instid1(VALU_DEP_1)
	v_add_nc_u32_e32 v6, v5, v6
	v_add_nc_u32_e32 v7, v6, v7
	s_delay_alu instid0(VALU_DEP_1) | instskip(NEXT) | instid1(VALU_DEP_1)
	v_add_nc_u32_e32 v19, v7, v8
	;; [unrolled: 3-line block ×3, first 2 shown]
	v_add_nc_u32_e32 v2, v1, v3
	ds_store_2addr_b64 v13, v[4:5], v[6:7] offset1:1
	ds_store_2addr_b64 v13, v[19:20], v[1:2] offset0:2 offset1:3
	s_waitcnt lgkmcnt(0)
	s_barrier
	buffer_gl0_inv
	ds_load_u16 v1, v14
	v_and_b32_e32 v2, 0xffff, v18
	s_waitcnt lgkmcnt(0)
	s_barrier
	buffer_gl0_inv
	v_add_nc_u32_e32 v1, v1, v2
	ds_store_b8 v1, v17
	s_waitcnt lgkmcnt(0)
	s_barrier
	buffer_gl0_inv
	ds_load_u8 v3, v0
	v_mad_u32_u24 v0, v1, 3, v1
	s_waitcnt lgkmcnt(0)
	s_barrier
	buffer_gl0_inv
	ds_store_b32 v0, v16
	s_waitcnt lgkmcnt(0)
	s_barrier
.LBB43_42:
	s_waitcnt vmcnt(0)
	buffer_gl0_inv
	ds_load_b32 v0, v15
	global_store_b8 v[9:10], v3, off
	s_waitcnt lgkmcnt(0)
	global_store_b32 v[11:12], v0, off
	s_nop 0
	s_sendmsg sendmsg(MSG_DEALLOC_VGPRS)
	s_endpgm
	.section	.rodata,"a",@progbits
	.p2align	6, 0x0
	.amdhsa_kernel _Z21sort_key_value_kernelILj255ELj1ELb0ELb0EhfEvPT3_PT4_jj
		.amdhsa_group_segment_fixed_size 8192
		.amdhsa_private_segment_fixed_size 0
		.amdhsa_kernarg_size 24
		.amdhsa_user_sgpr_count 15
		.amdhsa_user_sgpr_dispatch_ptr 0
		.amdhsa_user_sgpr_queue_ptr 0
		.amdhsa_user_sgpr_kernarg_segment_ptr 1
		.amdhsa_user_sgpr_dispatch_id 0
		.amdhsa_user_sgpr_private_segment_size 0
		.amdhsa_wavefront_size32 1
		.amdhsa_uses_dynamic_stack 0
		.amdhsa_enable_private_segment 0
		.amdhsa_system_sgpr_workgroup_id_x 1
		.amdhsa_system_sgpr_workgroup_id_y 0
		.amdhsa_system_sgpr_workgroup_id_z 0
		.amdhsa_system_sgpr_workgroup_info 0
		.amdhsa_system_vgpr_workitem_id 0
		.amdhsa_next_free_vgpr 27
		.amdhsa_next_free_sgpr 24
		.amdhsa_reserve_vcc 1
		.amdhsa_float_round_mode_32 0
		.amdhsa_float_round_mode_16_64 0
		.amdhsa_float_denorm_mode_32 3
		.amdhsa_float_denorm_mode_16_64 3
		.amdhsa_dx10_clamp 1
		.amdhsa_ieee_mode 1
		.amdhsa_fp16_overflow 0
		.amdhsa_workgroup_processor_mode 1
		.amdhsa_memory_ordered 1
		.amdhsa_forward_progress 0
		.amdhsa_shared_vgpr_count 0
		.amdhsa_exception_fp_ieee_invalid_op 0
		.amdhsa_exception_fp_denorm_src 0
		.amdhsa_exception_fp_ieee_div_zero 0
		.amdhsa_exception_fp_ieee_overflow 0
		.amdhsa_exception_fp_ieee_underflow 0
		.amdhsa_exception_fp_ieee_inexact 0
		.amdhsa_exception_int_div_zero 0
	.end_amdhsa_kernel
	.section	.text._Z21sort_key_value_kernelILj255ELj1ELb0ELb0EhfEvPT3_PT4_jj,"axG",@progbits,_Z21sort_key_value_kernelILj255ELj1ELb0ELb0EhfEvPT3_PT4_jj,comdat
.Lfunc_end43:
	.size	_Z21sort_key_value_kernelILj255ELj1ELb0ELb0EhfEvPT3_PT4_jj, .Lfunc_end43-_Z21sort_key_value_kernelILj255ELj1ELb0ELb0EhfEvPT3_PT4_jj
                                        ; -- End function
	.section	.AMDGPU.csdata,"",@progbits
; Kernel info:
; codeLenInByte = 3344
; NumSgprs: 26
; NumVgprs: 27
; ScratchSize: 0
; MemoryBound: 0
; FloatMode: 240
; IeeeMode: 1
; LDSByteSize: 8192 bytes/workgroup (compile time only)
; SGPRBlocks: 3
; VGPRBlocks: 3
; NumSGPRsForWavesPerEU: 26
; NumVGPRsForWavesPerEU: 27
; Occupancy: 16
; WaveLimiterHint : 0
; COMPUTE_PGM_RSRC2:SCRATCH_EN: 0
; COMPUTE_PGM_RSRC2:USER_SGPR: 15
; COMPUTE_PGM_RSRC2:TRAP_HANDLER: 0
; COMPUTE_PGM_RSRC2:TGID_X_EN: 1
; COMPUTE_PGM_RSRC2:TGID_Y_EN: 0
; COMPUTE_PGM_RSRC2:TGID_Z_EN: 0
; COMPUTE_PGM_RSRC2:TIDIG_COMP_CNT: 0
	.section	.text._Z21sort_key_value_kernelILj162ELj1ELb1ELb0EjxEvPT3_PT4_jj,"axG",@progbits,_Z21sort_key_value_kernelILj162ELj1ELb1ELb0EjxEvPT3_PT4_jj,comdat
	.protected	_Z21sort_key_value_kernelILj162ELj1ELb1ELb0EjxEvPT3_PT4_jj ; -- Begin function _Z21sort_key_value_kernelILj162ELj1ELb1ELb0EjxEvPT3_PT4_jj
	.globl	_Z21sort_key_value_kernelILj162ELj1ELb1ELb0EjxEvPT3_PT4_jj
	.p2align	8
	.type	_Z21sort_key_value_kernelILj162ELj1ELb1ELb0EjxEvPT3_PT4_jj,@function
_Z21sort_key_value_kernelILj162ELj1ELb1ELb0EjxEvPT3_PT4_jj: ; @_Z21sort_key_value_kernelILj162ELj1ELb1ELb0EjxEvPT3_PT4_jj
; %bb.0:
	s_clause 0x1
	s_load_b128 s[4:7], s[0:1], 0x0
	s_load_b64 s[22:23], s[0:1], 0x10
	v_mbcnt_lo_u32_b32 v1, -1, 0
	v_and_b32_e32 v2, 0xe0, v0
	s_mov_b32 s3, 0
	s_mul_i32 s2, s15, 0xa2
	v_lshlrev_b32_e32 v20, 2, v0
	v_add_nc_u32_e32 v5, -1, v1
	v_min_u32_e32 v2, 0x82, v2
	s_lshl_b64 s[0:1], s[2:3], 2
	v_and_b32_e32 v3, 15, v1
	v_lshlrev_b32_e32 v16, 5, v0
	v_cmp_gt_i32_e32 vcc_lo, 0, v5
	v_add_nc_u32_e32 v2, 31, v2
	v_lshlrev_b32_e32 v11, 3, v0
	v_and_b32_e32 v4, 16, v1
	v_cmp_eq_u32_e64 s9, 0, v3
	v_cmp_lt_u32_e64 s11, 3, v3
	v_cmp_lt_u32_e64 s10, 7, v3
	v_mad_i32_i24 v17, 0xffffffe4, v0, v16
	s_waitcnt lgkmcnt(0)
	s_add_u32 s18, s4, s0
	s_addc_u32 s19, s5, s1
	s_lshl_b64 s[0:1], s[2:3], 3
	v_cmp_eq_u32_e64 s8, 0, v4
	s_add_u32 s20, s6, s0
	s_addc_u32 s21, s7, s1
	v_cmp_eq_u32_e64 s6, v2, v0
	v_cndmask_b32_e32 v2, v5, v1, vcc_lo
	global_load_b32 v21, v20, s[18:19]
	global_load_b64 v[13:14], v11, s[20:21]
	s_cmp_eq_u32 s22, 0
	v_cmp_lt_u32_e64 s7, 1, v3
	s_cselect_b32 s0, -1, 0
	s_cmp_eq_u32 s23, 32
	v_lshrrev_b32_e32 v3, 3, v0
	v_and_b32_e32 v4, 7, v1
	s_cselect_b32 s1, -1, 0
	v_cmp_gt_u32_e64 s2, 6, v0
	s_and_b32 s12, s0, s1
	v_cmp_lt_u32_e64 s1, 31, v0
	v_lshlrev_b32_e32 v18, 2, v2
	v_cmp_eq_u32_e64 s0, 0, v1
	v_and_b32_e32 v19, 28, v3
	v_cmp_eq_u32_e64 s5, 0, v4
	v_cmp_lt_u32_e64 s4, 1, v4
	v_cmp_lt_u32_e64 s3, 3, v4
	v_add_nc_u32_e32 v15, v17, v20
	s_and_b32 vcc_lo, exec_lo, s12
	v_cmp_gt_u32_e64 s12, 0x3cc, v0
	v_cmp_gt_u32_e64 s13, 0x32a, v0
	s_mov_b32 s14, -1
	s_cbranch_vccnz .LBB44_19
; %bb.1:
	s_waitcnt vmcnt(0)
	v_dual_mov_b32 v12, 0 :: v_dual_mov_b32 v1, v13
	v_cmp_gt_u32_e64 s14, 0x288, v0
	v_cmp_gt_u32_e64 s15, 0x1e6, v0
	;; [unrolled: 1-line block ×4, first 2 shown]
	v_mov_b32_e32 v2, v14
	v_mov_b32_e32 v4, v21
	s_sub_i32 s24, s23, s22
	s_branch .LBB44_3
.LBB44_2:                               ;   in Loop: Header=BB44_3 Depth=1
	s_delay_alu instid0(VALU_DEP_1)
	v_add_nc_u32_e32 v1, v3, v3
	s_barrier
	buffer_gl0_inv
	ds_store_b32 v3, v22
	s_waitcnt lgkmcnt(0)
	s_barrier
	buffer_gl0_inv
	ds_load_b32 v4, v17
	s_waitcnt lgkmcnt(0)
	s_barrier
	buffer_gl0_inv
	ds_store_b64 v1, v[9:10]
	s_waitcnt lgkmcnt(0)
	s_barrier
	buffer_gl0_inv
	ds_load_b64 v[1:2], v15
	s_add_i32 s24, s24, -4
	s_waitcnt lgkmcnt(0)
	s_barrier
	buffer_gl0_inv
	s_cbranch_execz .LBB44_18
.LBB44_3:                               ; =>This Inner Loop Header: Depth=1
	s_delay_alu instid0(VALU_DEP_2) | instskip(NEXT) | instid1(VALU_DEP_2)
	v_mov_b32_e32 v10, v2
	v_dual_mov_b32 v22, v4 :: v_dual_mov_b32 v9, v1
	ds_store_2addr_b32 v20, v12, v12 offset1:162
	s_and_saveexec_b32 s25, s12
	s_cbranch_execz .LBB44_10
; %bb.4:                                ;   in Loop: Header=BB44_3 Depth=1
	ds_store_b32 v20, v12 offset:1296
	s_and_b32 exec_lo, exec_lo, s13
	s_cbranch_execz .LBB44_10
; %bb.5:                                ;   in Loop: Header=BB44_3 Depth=1
	ds_store_b32 v20, v12 offset:1944
	s_and_b32 exec_lo, exec_lo, s14
	;; [unrolled: 4-line block ×5, first 2 shown]
	s_cbranch_execz .LBB44_10
; %bb.9:                                ;   in Loop: Header=BB44_3 Depth=1
	ds_store_b32 v20, v12 offset:4536
.LBB44_10:                              ;   in Loop: Header=BB44_3 Depth=1
	s_or_b32 exec_lo, exec_lo, s25
	v_lshrrev_b32_e32 v1, s22, v22
	s_min_u32 s25, s24, 4
	s_delay_alu instid0(VALU_DEP_1) | instid1(SALU_CYCLE_1)
	v_bfe_u32 v1, v1, 0, s25
	s_delay_alu instid0(VALU_DEP_1) | instskip(SKIP_1) | instid1(VALU_DEP_2)
	v_and_b32_e32 v2, 7, v1
	v_lshrrev_b32_e32 v1, 3, v1
	v_mul_u32_u24_e32 v2, 0xa2, v2
	s_delay_alu instid0(VALU_DEP_1) | instskip(NEXT) | instid1(VALU_DEP_1)
	v_add_lshl_u32 v2, v2, v0, 1
	v_add_lshl_u32 v23, v2, v1, 1
	ds_load_u16 v24, v23
	s_waitcnt lgkmcnt(0)
	v_add_nc_u16 v1, v24, 1
	ds_store_b16 v23, v1
	s_waitcnt lgkmcnt(0)
	s_barrier
	buffer_gl0_inv
	ds_load_2addr_b64 v[5:8], v16 offset1:1
	ds_load_2addr_b64 v[1:4], v16 offset0:2 offset1:3
	s_waitcnt lgkmcnt(1)
	v_add_nc_u32_e32 v25, v6, v5
	s_delay_alu instid0(VALU_DEP_1) | instskip(SKIP_1) | instid1(VALU_DEP_1)
	v_add3_u32 v25, v25, v7, v8
	s_waitcnt lgkmcnt(0)
	v_add3_u32 v25, v25, v1, v2
	s_delay_alu instid0(VALU_DEP_1) | instskip(NEXT) | instid1(VALU_DEP_1)
	v_add3_u32 v4, v25, v3, v4
	v_mov_b32_dpp v25, v4 row_shr:1 row_mask:0xf bank_mask:0xf
	s_delay_alu instid0(VALU_DEP_1) | instskip(NEXT) | instid1(VALU_DEP_1)
	v_cndmask_b32_e64 v25, v25, 0, s9
	v_add_nc_u32_e32 v4, v25, v4
	s_delay_alu instid0(VALU_DEP_1) | instskip(NEXT) | instid1(VALU_DEP_1)
	v_mov_b32_dpp v25, v4 row_shr:2 row_mask:0xf bank_mask:0xf
	v_cndmask_b32_e64 v25, 0, v25, s7
	s_delay_alu instid0(VALU_DEP_1) | instskip(NEXT) | instid1(VALU_DEP_1)
	v_add_nc_u32_e32 v4, v4, v25
	v_mov_b32_dpp v25, v4 row_shr:4 row_mask:0xf bank_mask:0xf
	s_delay_alu instid0(VALU_DEP_1) | instskip(NEXT) | instid1(VALU_DEP_1)
	v_cndmask_b32_e64 v25, 0, v25, s11
	v_add_nc_u32_e32 v4, v4, v25
	s_delay_alu instid0(VALU_DEP_1) | instskip(NEXT) | instid1(VALU_DEP_1)
	v_mov_b32_dpp v25, v4 row_shr:8 row_mask:0xf bank_mask:0xf
	v_cndmask_b32_e64 v25, 0, v25, s10
	s_delay_alu instid0(VALU_DEP_1) | instskip(SKIP_3) | instid1(VALU_DEP_1)
	v_add_nc_u32_e32 v4, v4, v25
	ds_swizzle_b32 v25, v4 offset:swizzle(BROADCAST,32,15)
	s_waitcnt lgkmcnt(0)
	v_cndmask_b32_e64 v25, v25, 0, s8
	v_add_nc_u32_e32 v4, v4, v25
	s_and_saveexec_b32 s25, s6
	s_cbranch_execz .LBB44_12
; %bb.11:                               ;   in Loop: Header=BB44_3 Depth=1
	ds_store_b32 v19, v4 offset:5184
.LBB44_12:                              ;   in Loop: Header=BB44_3 Depth=1
	s_or_b32 exec_lo, exec_lo, s25
	s_waitcnt lgkmcnt(0)
	s_barrier
	buffer_gl0_inv
	s_and_saveexec_b32 s25, s2
	s_cbranch_execz .LBB44_14
; %bb.13:                               ;   in Loop: Header=BB44_3 Depth=1
	ds_load_b32 v25, v17 offset:5184
	s_waitcnt lgkmcnt(0)
	v_mov_b32_dpp v26, v25 row_shr:1 row_mask:0xf bank_mask:0xf
	s_delay_alu instid0(VALU_DEP_1) | instskip(NEXT) | instid1(VALU_DEP_1)
	v_cndmask_b32_e64 v26, v26, 0, s5
	v_add_nc_u32_e32 v25, v26, v25
	s_delay_alu instid0(VALU_DEP_1) | instskip(NEXT) | instid1(VALU_DEP_1)
	v_mov_b32_dpp v26, v25 row_shr:2 row_mask:0xf bank_mask:0xf
	v_cndmask_b32_e64 v26, 0, v26, s4
	s_delay_alu instid0(VALU_DEP_1) | instskip(NEXT) | instid1(VALU_DEP_1)
	v_add_nc_u32_e32 v25, v25, v26
	v_mov_b32_dpp v26, v25 row_shr:4 row_mask:0xf bank_mask:0xf
	s_delay_alu instid0(VALU_DEP_1) | instskip(NEXT) | instid1(VALU_DEP_1)
	v_cndmask_b32_e64 v26, 0, v26, s3
	v_add_nc_u32_e32 v25, v25, v26
	ds_store_b32 v17, v25 offset:5184
.LBB44_14:                              ;   in Loop: Header=BB44_3 Depth=1
	s_or_b32 exec_lo, exec_lo, s25
	v_mov_b32_e32 v25, 0
	s_waitcnt lgkmcnt(0)
	s_barrier
	buffer_gl0_inv
	s_and_saveexec_b32 s25, s1
	s_cbranch_execz .LBB44_16
; %bb.15:                               ;   in Loop: Header=BB44_3 Depth=1
	ds_load_b32 v25, v19 offset:5180
.LBB44_16:                              ;   in Loop: Header=BB44_3 Depth=1
	s_or_b32 exec_lo, exec_lo, s25
	s_waitcnt lgkmcnt(0)
	v_add_nc_u32_e32 v4, v25, v4
	ds_load_b32 v26, v12 offset:5204
	s_add_i32 s22, s22, 4
	s_delay_alu instid0(SALU_CYCLE_1) | instskip(SKIP_3) | instid1(VALU_DEP_1)
	s_cmp_ge_u32 s22, s23
	ds_bpermute_b32 v4, v18, v4
	s_waitcnt lgkmcnt(0)
	v_cndmask_b32_e64 v4, v4, v25, s0
	v_lshl_add_u32 v4, v26, 16, v4
	s_delay_alu instid0(VALU_DEP_1) | instskip(NEXT) | instid1(VALU_DEP_1)
	v_add_nc_u32_e32 v5, v4, v5
	v_add_nc_u32_e32 v6, v5, v6
	s_delay_alu instid0(VALU_DEP_1) | instskip(NEXT) | instid1(VALU_DEP_1)
	v_add_nc_u32_e32 v7, v6, v7
	v_add_nc_u32_e32 v25, v7, v8
	;; [unrolled: 3-line block ×3, first 2 shown]
	s_delay_alu instid0(VALU_DEP_1)
	v_add_nc_u32_e32 v2, v1, v3
	ds_store_2addr_b64 v16, v[4:5], v[6:7] offset1:1
	ds_store_2addr_b64 v16, v[25:26], v[1:2] offset0:2 offset1:3
	s_waitcnt lgkmcnt(0)
	s_barrier
	buffer_gl0_inv
	ds_load_u16 v1, v23
	v_and_b32_e32 v2, 0xffff, v24
	s_waitcnt lgkmcnt(0)
	s_delay_alu instid0(VALU_DEP_1)
	v_add_lshl_u32 v3, v1, v2, 2
	s_cbranch_scc0 .LBB44_2
; %bb.17:
                                        ; implicit-def: $vgpr4
                                        ; implicit-def: $vgpr1_vgpr2
                                        ; implicit-def: $sgpr24
.LBB44_18:
	s_barrier
	buffer_gl0_inv
	ds_store_b32 v3, v22
	s_waitcnt lgkmcnt(0)
	s_barrier
	buffer_gl0_inv
	ds_load_b32 v1, v17
	v_add_nc_u32_e32 v2, v3, v3
	s_mov_b32 s14, 0
	s_waitcnt lgkmcnt(0)
	s_barrier
	buffer_gl0_inv
	ds_store_b64 v2, v[9:10]
	s_waitcnt lgkmcnt(0)
	s_barrier
	s_branch .LBB44_20
.LBB44_19:
                                        ; implicit-def: $vgpr1
.LBB44_20:
	v_add_co_u32 v9, s12, s18, v20
	s_delay_alu instid0(VALU_DEP_1) | instskip(SKIP_1) | instid1(VALU_DEP_1)
	v_add_co_ci_u32_e64 v10, null, s19, 0, s12
	v_add_co_u32 v11, s12, s20, v11
	v_add_co_ci_u32_e64 v12, null, s21, 0, s12
	s_and_b32 vcc_lo, exec_lo, s14
	s_cbranch_vccz .LBB44_126
; %bb.21:
	v_mov_b32_e32 v2, 0
	v_sub_nc_u32_e32 v1, v15, v20
	v_cmp_gt_u32_e32 vcc_lo, 0x3cc, v0
	ds_store_2addr_b32 v1, v2, v2 offset1:162
	s_and_saveexec_b32 s13, vcc_lo
	s_cbranch_execz .LBB44_28
; %bb.22:
	v_sub_nc_u32_e32 v1, 0, v20
	v_cmp_gt_u32_e64 s12, 0x32a, v0
	s_delay_alu instid0(VALU_DEP_2)
	v_add_nc_u32_e32 v1, v15, v1
	ds_store_b32 v1, v2 offset:1296
	s_and_b32 exec_lo, exec_lo, s12
	s_cbranch_execz .LBB44_28
; %bb.23:
	v_mov_b32_e32 v2, 0
	v_cmp_gt_u32_e64 s12, 0x288, v0
	ds_store_b32 v1, v2 offset:1944
	s_and_b32 exec_lo, exec_lo, s12
	s_cbranch_execz .LBB44_28
; %bb.24:
	v_cmp_gt_u32_e64 s12, 0x1e6, v0
	ds_store_b32 v1, v2 offset:2592
	s_and_b32 exec_lo, exec_lo, s12
	s_cbranch_execz .LBB44_28
; %bb.25:
	v_mov_b32_e32 v2, 0
	v_cmp_gt_u32_e64 s12, 0x144, v0
	ds_store_b32 v1, v2 offset:3240
	s_and_b32 exec_lo, exec_lo, s12
	s_cbranch_execz .LBB44_28
; %bb.26:
	v_cmp_gt_u32_e64 s12, 0xa2, v0
	ds_store_b32 v1, v2 offset:3888
	s_and_b32 exec_lo, exec_lo, s12
	s_cbranch_execz .LBB44_28
; %bb.27:
	v_mov_b32_e32 v2, 0
	ds_store_b32 v1, v2 offset:4536
.LBB44_28:
	s_or_b32 exec_lo, exec_lo, s13
	s_waitcnt vmcnt(1)
	v_and_b32_e32 v1, 7, v21
	v_lshrrev_b32_e32 v2, 2, v21
	s_delay_alu instid0(VALU_DEP_2) | instskip(NEXT) | instid1(VALU_DEP_2)
	v_mad_u32_u24 v1, 0xa2, v1, v0
	v_and_b32_e32 v2, 2, v2
	s_delay_alu instid0(VALU_DEP_1)
	v_lshl_or_b32 v22, v1, 2, v2
	ds_load_u16 v23, v22
	s_waitcnt lgkmcnt(0)
	v_add_nc_u16 v1, v23, 1
	ds_store_b16 v22, v1
	s_waitcnt vmcnt(0) lgkmcnt(0)
	s_barrier
	buffer_gl0_inv
	ds_load_2addr_b64 v[5:8], v16 offset1:1
	ds_load_2addr_b64 v[1:4], v16 offset0:2 offset1:3
	s_waitcnt lgkmcnt(1)
	v_add_nc_u32_e32 v24, v6, v5
	s_delay_alu instid0(VALU_DEP_1) | instskip(SKIP_1) | instid1(VALU_DEP_1)
	v_add3_u32 v24, v24, v7, v8
	s_waitcnt lgkmcnt(0)
	v_add3_u32 v24, v24, v1, v2
	s_delay_alu instid0(VALU_DEP_1) | instskip(NEXT) | instid1(VALU_DEP_1)
	v_add3_u32 v4, v24, v3, v4
	v_mov_b32_dpp v24, v4 row_shr:1 row_mask:0xf bank_mask:0xf
	s_delay_alu instid0(VALU_DEP_1) | instskip(NEXT) | instid1(VALU_DEP_1)
	v_cndmask_b32_e64 v24, v24, 0, s9
	v_add_nc_u32_e32 v4, v24, v4
	s_delay_alu instid0(VALU_DEP_1) | instskip(NEXT) | instid1(VALU_DEP_1)
	v_mov_b32_dpp v24, v4 row_shr:2 row_mask:0xf bank_mask:0xf
	v_cndmask_b32_e64 v24, 0, v24, s7
	s_delay_alu instid0(VALU_DEP_1) | instskip(NEXT) | instid1(VALU_DEP_1)
	v_add_nc_u32_e32 v4, v4, v24
	v_mov_b32_dpp v24, v4 row_shr:4 row_mask:0xf bank_mask:0xf
	s_delay_alu instid0(VALU_DEP_1) | instskip(NEXT) | instid1(VALU_DEP_1)
	v_cndmask_b32_e64 v24, 0, v24, s11
	v_add_nc_u32_e32 v4, v4, v24
	s_delay_alu instid0(VALU_DEP_1) | instskip(NEXT) | instid1(VALU_DEP_1)
	v_mov_b32_dpp v24, v4 row_shr:8 row_mask:0xf bank_mask:0xf
	v_cndmask_b32_e64 v24, 0, v24, s10
	s_delay_alu instid0(VALU_DEP_1) | instskip(SKIP_3) | instid1(VALU_DEP_1)
	v_add_nc_u32_e32 v4, v4, v24
	ds_swizzle_b32 v24, v4 offset:swizzle(BROADCAST,32,15)
	s_waitcnt lgkmcnt(0)
	v_cndmask_b32_e64 v24, v24, 0, s8
	v_add_nc_u32_e32 v24, v4, v24
	s_and_saveexec_b32 s12, s6
	s_cbranch_execz .LBB44_30
; %bb.29:
	ds_store_b32 v19, v24 offset:5184
.LBB44_30:
	s_or_b32 exec_lo, exec_lo, s12
	s_waitcnt lgkmcnt(0)
	s_barrier
	buffer_gl0_inv
	s_and_saveexec_b32 s12, s2
	s_cbranch_execz .LBB44_32
; %bb.31:
	ds_load_b32 v4, v17 offset:5184
	s_waitcnt lgkmcnt(0)
	v_mov_b32_dpp v25, v4 row_shr:1 row_mask:0xf bank_mask:0xf
	s_delay_alu instid0(VALU_DEP_1) | instskip(NEXT) | instid1(VALU_DEP_1)
	v_cndmask_b32_e64 v25, v25, 0, s5
	v_add_nc_u32_e32 v4, v25, v4
	s_delay_alu instid0(VALU_DEP_1) | instskip(NEXT) | instid1(VALU_DEP_1)
	v_mov_b32_dpp v25, v4 row_shr:2 row_mask:0xf bank_mask:0xf
	v_cndmask_b32_e64 v25, 0, v25, s4
	s_delay_alu instid0(VALU_DEP_1) | instskip(NEXT) | instid1(VALU_DEP_1)
	v_add_nc_u32_e32 v4, v4, v25
	v_mov_b32_dpp v25, v4 row_shr:4 row_mask:0xf bank_mask:0xf
	s_delay_alu instid0(VALU_DEP_1) | instskip(NEXT) | instid1(VALU_DEP_1)
	v_cndmask_b32_e64 v25, 0, v25, s3
	v_add_nc_u32_e32 v4, v4, v25
	ds_store_b32 v17, v4 offset:5184
.LBB44_32:
	s_or_b32 exec_lo, exec_lo, s12
	v_dual_mov_b32 v4, 0 :: v_dual_mov_b32 v25, 0
	s_waitcnt lgkmcnt(0)
	s_barrier
	buffer_gl0_inv
	s_and_saveexec_b32 s12, s1
	s_cbranch_execz .LBB44_34
; %bb.33:
	ds_load_b32 v25, v19 offset:5180
.LBB44_34:
	s_or_b32 exec_lo, exec_lo, s12
	s_waitcnt lgkmcnt(0)
	v_add_nc_u32_e32 v24, v25, v24
	ds_load_b32 v26, v4 offset:5204
	ds_bpermute_b32 v24, v18, v24
	s_waitcnt lgkmcnt(0)
	v_cndmask_b32_e64 v24, v24, v25, s0
	s_delay_alu instid0(VALU_DEP_1) | instskip(NEXT) | instid1(VALU_DEP_1)
	v_lshl_add_u32 v24, v26, 16, v24
	v_add_nc_u32_e32 v25, v24, v5
	s_delay_alu instid0(VALU_DEP_1) | instskip(NEXT) | instid1(VALU_DEP_1)
	v_add_nc_u32_e32 v5, v25, v6
	v_add_nc_u32_e32 v6, v5, v7
	s_delay_alu instid0(VALU_DEP_1) | instskip(NEXT) | instid1(VALU_DEP_1)
	v_add_nc_u32_e32 v7, v6, v8
	;; [unrolled: 3-line block ×3, first 2 shown]
	v_add_nc_u32_e32 v2, v1, v3
	ds_store_2addr_b64 v16, v[24:25], v[5:6] offset1:1
	ds_store_2addr_b64 v16, v[7:8], v[1:2] offset0:2 offset1:3
	s_waitcnt lgkmcnt(0)
	s_barrier
	buffer_gl0_inv
	ds_load_u16 v1, v22
	v_and_b32_e32 v2, 0xffff, v23
	s_waitcnt lgkmcnt(0)
	s_barrier
	buffer_gl0_inv
	v_add_lshl_u32 v1, v1, v2, 2
	ds_store_b32 v1, v21
	v_add_nc_u32_e32 v1, v1, v1
	s_waitcnt lgkmcnt(0)
	s_barrier
	buffer_gl0_inv
	ds_load_b32 v21, v17
	s_waitcnt lgkmcnt(0)
	s_barrier
	buffer_gl0_inv
	ds_store_b64 v1, v[13:14]
	s_waitcnt lgkmcnt(0)
	s_barrier
	buffer_gl0_inv
	ds_load_b64 v[13:14], v15
	s_waitcnt lgkmcnt(0)
	s_barrier
	buffer_gl0_inv
	ds_store_2addr_b32 v20, v4, v4 offset1:162
	s_and_saveexec_b32 s13, vcc_lo
	s_cbranch_execz .LBB44_41
; %bb.35:
	v_mov_b32_e32 v1, 0
	v_cmp_gt_u32_e64 s12, 0x32a, v0
	ds_store_b32 v20, v1 offset:1296
	s_and_b32 exec_lo, exec_lo, s12
	s_cbranch_execz .LBB44_41
; %bb.36:
	v_cmp_gt_u32_e64 s12, 0x288, v0
	ds_store_b32 v20, v1 offset:1944
	s_and_b32 exec_lo, exec_lo, s12
	s_cbranch_execz .LBB44_41
; %bb.37:
	v_mov_b32_e32 v1, 0
	v_cmp_gt_u32_e64 s12, 0x1e6, v0
	ds_store_b32 v20, v1 offset:2592
	s_and_b32 exec_lo, exec_lo, s12
	s_cbranch_execz .LBB44_41
; %bb.38:
	v_cmp_gt_u32_e64 s12, 0x144, v0
	ds_store_b32 v20, v1 offset:3240
	s_and_b32 exec_lo, exec_lo, s12
	s_cbranch_execz .LBB44_41
; %bb.39:
	v_mov_b32_e32 v1, 0
	v_cmp_gt_u32_e64 s12, 0xa2, v0
	ds_store_b32 v20, v1 offset:3888
	s_and_b32 exec_lo, exec_lo, s12
	s_cbranch_execz .LBB44_41
; %bb.40:
	ds_store_b32 v20, v1 offset:4536
.LBB44_41:
	s_or_b32 exec_lo, exec_lo, s13
	v_bfe_u32 v1, v21, 4, 3
	v_lshrrev_b32_e32 v2, 6, v21
	s_delay_alu instid0(VALU_DEP_2) | instskip(NEXT) | instid1(VALU_DEP_2)
	v_mad_u32_u24 v1, 0xa2, v1, v0
	v_and_b32_e32 v2, 2, v2
	s_delay_alu instid0(VALU_DEP_1)
	v_lshl_or_b32 v22, v1, 2, v2
	ds_load_u16 v23, v22
	s_waitcnt lgkmcnt(0)
	v_add_nc_u16 v1, v23, 1
	ds_store_b16 v22, v1
	s_waitcnt lgkmcnt(0)
	s_barrier
	buffer_gl0_inv
	ds_load_2addr_b64 v[5:8], v16 offset1:1
	ds_load_2addr_b64 v[1:4], v16 offset0:2 offset1:3
	s_waitcnt lgkmcnt(1)
	v_add_nc_u32_e32 v24, v6, v5
	s_delay_alu instid0(VALU_DEP_1) | instskip(SKIP_1) | instid1(VALU_DEP_1)
	v_add3_u32 v24, v24, v7, v8
	s_waitcnt lgkmcnt(0)
	v_add3_u32 v24, v24, v1, v2
	s_delay_alu instid0(VALU_DEP_1) | instskip(NEXT) | instid1(VALU_DEP_1)
	v_add3_u32 v4, v24, v3, v4
	v_mov_b32_dpp v24, v4 row_shr:1 row_mask:0xf bank_mask:0xf
	s_delay_alu instid0(VALU_DEP_1) | instskip(NEXT) | instid1(VALU_DEP_1)
	v_cndmask_b32_e64 v24, v24, 0, s9
	v_add_nc_u32_e32 v4, v24, v4
	s_delay_alu instid0(VALU_DEP_1) | instskip(NEXT) | instid1(VALU_DEP_1)
	v_mov_b32_dpp v24, v4 row_shr:2 row_mask:0xf bank_mask:0xf
	v_cndmask_b32_e64 v24, 0, v24, s7
	s_delay_alu instid0(VALU_DEP_1) | instskip(NEXT) | instid1(VALU_DEP_1)
	v_add_nc_u32_e32 v4, v4, v24
	v_mov_b32_dpp v24, v4 row_shr:4 row_mask:0xf bank_mask:0xf
	s_delay_alu instid0(VALU_DEP_1) | instskip(NEXT) | instid1(VALU_DEP_1)
	v_cndmask_b32_e64 v24, 0, v24, s11
	v_add_nc_u32_e32 v4, v4, v24
	s_delay_alu instid0(VALU_DEP_1) | instskip(NEXT) | instid1(VALU_DEP_1)
	v_mov_b32_dpp v24, v4 row_shr:8 row_mask:0xf bank_mask:0xf
	v_cndmask_b32_e64 v24, 0, v24, s10
	s_delay_alu instid0(VALU_DEP_1) | instskip(SKIP_3) | instid1(VALU_DEP_1)
	v_add_nc_u32_e32 v4, v4, v24
	ds_swizzle_b32 v24, v4 offset:swizzle(BROADCAST,32,15)
	s_waitcnt lgkmcnt(0)
	v_cndmask_b32_e64 v24, v24, 0, s8
	v_add_nc_u32_e32 v24, v4, v24
	s_and_saveexec_b32 s12, s6
	s_cbranch_execz .LBB44_43
; %bb.42:
	ds_store_b32 v19, v24 offset:5184
.LBB44_43:
	s_or_b32 exec_lo, exec_lo, s12
	s_waitcnt lgkmcnt(0)
	s_barrier
	buffer_gl0_inv
	s_and_saveexec_b32 s12, s2
	s_cbranch_execz .LBB44_45
; %bb.44:
	ds_load_b32 v4, v17 offset:5184
	s_waitcnt lgkmcnt(0)
	v_mov_b32_dpp v25, v4 row_shr:1 row_mask:0xf bank_mask:0xf
	s_delay_alu instid0(VALU_DEP_1) | instskip(NEXT) | instid1(VALU_DEP_1)
	v_cndmask_b32_e64 v25, v25, 0, s5
	v_add_nc_u32_e32 v4, v25, v4
	s_delay_alu instid0(VALU_DEP_1) | instskip(NEXT) | instid1(VALU_DEP_1)
	v_mov_b32_dpp v25, v4 row_shr:2 row_mask:0xf bank_mask:0xf
	v_cndmask_b32_e64 v25, 0, v25, s4
	s_delay_alu instid0(VALU_DEP_1) | instskip(NEXT) | instid1(VALU_DEP_1)
	v_add_nc_u32_e32 v4, v4, v25
	v_mov_b32_dpp v25, v4 row_shr:4 row_mask:0xf bank_mask:0xf
	s_delay_alu instid0(VALU_DEP_1) | instskip(NEXT) | instid1(VALU_DEP_1)
	v_cndmask_b32_e64 v25, 0, v25, s3
	v_add_nc_u32_e32 v4, v4, v25
	ds_store_b32 v17, v4 offset:5184
.LBB44_45:
	s_or_b32 exec_lo, exec_lo, s12
	v_dual_mov_b32 v4, 0 :: v_dual_mov_b32 v25, 0
	s_waitcnt lgkmcnt(0)
	s_barrier
	buffer_gl0_inv
	s_and_saveexec_b32 s12, s1
	s_cbranch_execz .LBB44_47
; %bb.46:
	ds_load_b32 v25, v19 offset:5180
.LBB44_47:
	s_or_b32 exec_lo, exec_lo, s12
	s_waitcnt lgkmcnt(0)
	v_add_nc_u32_e32 v24, v25, v24
	ds_load_b32 v26, v4 offset:5204
	ds_bpermute_b32 v24, v18, v24
	s_waitcnt lgkmcnt(0)
	v_cndmask_b32_e64 v24, v24, v25, s0
	s_delay_alu instid0(VALU_DEP_1) | instskip(NEXT) | instid1(VALU_DEP_1)
	v_lshl_add_u32 v24, v26, 16, v24
	v_add_nc_u32_e32 v25, v24, v5
	s_delay_alu instid0(VALU_DEP_1) | instskip(NEXT) | instid1(VALU_DEP_1)
	v_add_nc_u32_e32 v5, v25, v6
	v_add_nc_u32_e32 v6, v5, v7
	s_delay_alu instid0(VALU_DEP_1) | instskip(NEXT) | instid1(VALU_DEP_1)
	v_add_nc_u32_e32 v7, v6, v8
	;; [unrolled: 3-line block ×3, first 2 shown]
	v_add_nc_u32_e32 v2, v1, v3
	ds_store_2addr_b64 v16, v[24:25], v[5:6] offset1:1
	ds_store_2addr_b64 v16, v[7:8], v[1:2] offset0:2 offset1:3
	s_waitcnt lgkmcnt(0)
	s_barrier
	buffer_gl0_inv
	ds_load_u16 v1, v22
	v_and_b32_e32 v2, 0xffff, v23
	s_waitcnt lgkmcnt(0)
	s_barrier
	buffer_gl0_inv
	v_add_lshl_u32 v1, v1, v2, 2
	ds_store_b32 v1, v21
	v_add_nc_u32_e32 v1, v1, v1
	s_waitcnt lgkmcnt(0)
	s_barrier
	buffer_gl0_inv
	ds_load_b32 v21, v17
	s_waitcnt lgkmcnt(0)
	s_barrier
	buffer_gl0_inv
	ds_store_b64 v1, v[13:14]
	s_waitcnt lgkmcnt(0)
	s_barrier
	buffer_gl0_inv
	ds_load_b64 v[13:14], v15
	s_waitcnt lgkmcnt(0)
	s_barrier
	buffer_gl0_inv
	ds_store_2addr_b32 v20, v4, v4 offset1:162
	s_and_saveexec_b32 s13, vcc_lo
	s_cbranch_execz .LBB44_54
; %bb.48:
	v_mov_b32_e32 v1, 0
	v_cmp_gt_u32_e64 s12, 0x32a, v0
	ds_store_b32 v20, v1 offset:1296
	s_and_b32 exec_lo, exec_lo, s12
	s_cbranch_execz .LBB44_54
; %bb.49:
	v_cmp_gt_u32_e64 s12, 0x288, v0
	ds_store_b32 v20, v1 offset:1944
	s_and_b32 exec_lo, exec_lo, s12
	s_cbranch_execz .LBB44_54
; %bb.50:
	v_mov_b32_e32 v1, 0
	v_cmp_gt_u32_e64 s12, 0x1e6, v0
	ds_store_b32 v20, v1 offset:2592
	s_and_b32 exec_lo, exec_lo, s12
	s_cbranch_execz .LBB44_54
; %bb.51:
	v_cmp_gt_u32_e64 s12, 0x144, v0
	ds_store_b32 v20, v1 offset:3240
	s_and_b32 exec_lo, exec_lo, s12
	s_cbranch_execz .LBB44_54
; %bb.52:
	v_mov_b32_e32 v1, 0
	v_cmp_gt_u32_e64 s12, 0xa2, v0
	ds_store_b32 v20, v1 offset:3888
	s_and_b32 exec_lo, exec_lo, s12
	s_cbranch_execz .LBB44_54
; %bb.53:
	ds_store_b32 v20, v1 offset:4536
.LBB44_54:
	s_or_b32 exec_lo, exec_lo, s13
	v_bfe_u32 v1, v21, 8, 3
	v_lshrrev_b32_e32 v2, 10, v21
	s_delay_alu instid0(VALU_DEP_2) | instskip(NEXT) | instid1(VALU_DEP_2)
	v_mad_u32_u24 v1, 0xa2, v1, v0
	v_and_b32_e32 v2, 2, v2
	s_delay_alu instid0(VALU_DEP_1)
	v_lshl_or_b32 v22, v1, 2, v2
	ds_load_u16 v23, v22
	s_waitcnt lgkmcnt(0)
	v_add_nc_u16 v1, v23, 1
	ds_store_b16 v22, v1
	s_waitcnt lgkmcnt(0)
	s_barrier
	buffer_gl0_inv
	ds_load_2addr_b64 v[5:8], v16 offset1:1
	ds_load_2addr_b64 v[1:4], v16 offset0:2 offset1:3
	s_waitcnt lgkmcnt(1)
	v_add_nc_u32_e32 v24, v6, v5
	s_delay_alu instid0(VALU_DEP_1) | instskip(SKIP_1) | instid1(VALU_DEP_1)
	v_add3_u32 v24, v24, v7, v8
	s_waitcnt lgkmcnt(0)
	v_add3_u32 v24, v24, v1, v2
	s_delay_alu instid0(VALU_DEP_1) | instskip(NEXT) | instid1(VALU_DEP_1)
	v_add3_u32 v4, v24, v3, v4
	v_mov_b32_dpp v24, v4 row_shr:1 row_mask:0xf bank_mask:0xf
	s_delay_alu instid0(VALU_DEP_1) | instskip(NEXT) | instid1(VALU_DEP_1)
	v_cndmask_b32_e64 v24, v24, 0, s9
	v_add_nc_u32_e32 v4, v24, v4
	s_delay_alu instid0(VALU_DEP_1) | instskip(NEXT) | instid1(VALU_DEP_1)
	v_mov_b32_dpp v24, v4 row_shr:2 row_mask:0xf bank_mask:0xf
	v_cndmask_b32_e64 v24, 0, v24, s7
	s_delay_alu instid0(VALU_DEP_1) | instskip(NEXT) | instid1(VALU_DEP_1)
	v_add_nc_u32_e32 v4, v4, v24
	v_mov_b32_dpp v24, v4 row_shr:4 row_mask:0xf bank_mask:0xf
	s_delay_alu instid0(VALU_DEP_1) | instskip(NEXT) | instid1(VALU_DEP_1)
	v_cndmask_b32_e64 v24, 0, v24, s11
	v_add_nc_u32_e32 v4, v4, v24
	s_delay_alu instid0(VALU_DEP_1) | instskip(NEXT) | instid1(VALU_DEP_1)
	v_mov_b32_dpp v24, v4 row_shr:8 row_mask:0xf bank_mask:0xf
	v_cndmask_b32_e64 v24, 0, v24, s10
	s_delay_alu instid0(VALU_DEP_1) | instskip(SKIP_3) | instid1(VALU_DEP_1)
	v_add_nc_u32_e32 v4, v4, v24
	ds_swizzle_b32 v24, v4 offset:swizzle(BROADCAST,32,15)
	s_waitcnt lgkmcnt(0)
	v_cndmask_b32_e64 v24, v24, 0, s8
	v_add_nc_u32_e32 v24, v4, v24
	s_and_saveexec_b32 s12, s6
	s_cbranch_execz .LBB44_56
; %bb.55:
	ds_store_b32 v19, v24 offset:5184
.LBB44_56:
	s_or_b32 exec_lo, exec_lo, s12
	s_waitcnt lgkmcnt(0)
	s_barrier
	buffer_gl0_inv
	s_and_saveexec_b32 s12, s2
	s_cbranch_execz .LBB44_58
; %bb.57:
	ds_load_b32 v4, v17 offset:5184
	s_waitcnt lgkmcnt(0)
	v_mov_b32_dpp v25, v4 row_shr:1 row_mask:0xf bank_mask:0xf
	s_delay_alu instid0(VALU_DEP_1) | instskip(NEXT) | instid1(VALU_DEP_1)
	v_cndmask_b32_e64 v25, v25, 0, s5
	v_add_nc_u32_e32 v4, v25, v4
	s_delay_alu instid0(VALU_DEP_1) | instskip(NEXT) | instid1(VALU_DEP_1)
	v_mov_b32_dpp v25, v4 row_shr:2 row_mask:0xf bank_mask:0xf
	v_cndmask_b32_e64 v25, 0, v25, s4
	s_delay_alu instid0(VALU_DEP_1) | instskip(NEXT) | instid1(VALU_DEP_1)
	v_add_nc_u32_e32 v4, v4, v25
	v_mov_b32_dpp v25, v4 row_shr:4 row_mask:0xf bank_mask:0xf
	s_delay_alu instid0(VALU_DEP_1) | instskip(NEXT) | instid1(VALU_DEP_1)
	v_cndmask_b32_e64 v25, 0, v25, s3
	v_add_nc_u32_e32 v4, v4, v25
	ds_store_b32 v17, v4 offset:5184
.LBB44_58:
	s_or_b32 exec_lo, exec_lo, s12
	v_dual_mov_b32 v4, 0 :: v_dual_mov_b32 v25, 0
	s_waitcnt lgkmcnt(0)
	s_barrier
	buffer_gl0_inv
	s_and_saveexec_b32 s12, s1
	s_cbranch_execz .LBB44_60
; %bb.59:
	ds_load_b32 v25, v19 offset:5180
.LBB44_60:
	s_or_b32 exec_lo, exec_lo, s12
	s_waitcnt lgkmcnt(0)
	v_add_nc_u32_e32 v24, v25, v24
	ds_load_b32 v26, v4 offset:5204
	ds_bpermute_b32 v24, v18, v24
	s_waitcnt lgkmcnt(0)
	v_cndmask_b32_e64 v24, v24, v25, s0
	s_delay_alu instid0(VALU_DEP_1) | instskip(NEXT) | instid1(VALU_DEP_1)
	v_lshl_add_u32 v24, v26, 16, v24
	v_add_nc_u32_e32 v25, v24, v5
	s_delay_alu instid0(VALU_DEP_1) | instskip(NEXT) | instid1(VALU_DEP_1)
	v_add_nc_u32_e32 v5, v25, v6
	v_add_nc_u32_e32 v6, v5, v7
	s_delay_alu instid0(VALU_DEP_1) | instskip(NEXT) | instid1(VALU_DEP_1)
	v_add_nc_u32_e32 v7, v6, v8
	;; [unrolled: 3-line block ×3, first 2 shown]
	v_add_nc_u32_e32 v2, v1, v3
	ds_store_2addr_b64 v16, v[24:25], v[5:6] offset1:1
	ds_store_2addr_b64 v16, v[7:8], v[1:2] offset0:2 offset1:3
	s_waitcnt lgkmcnt(0)
	s_barrier
	buffer_gl0_inv
	ds_load_u16 v1, v22
	v_and_b32_e32 v2, 0xffff, v23
	s_waitcnt lgkmcnt(0)
	s_barrier
	buffer_gl0_inv
	v_add_lshl_u32 v1, v1, v2, 2
	ds_store_b32 v1, v21
	v_add_nc_u32_e32 v1, v1, v1
	s_waitcnt lgkmcnt(0)
	s_barrier
	buffer_gl0_inv
	ds_load_b32 v21, v17
	s_waitcnt lgkmcnt(0)
	s_barrier
	buffer_gl0_inv
	ds_store_b64 v1, v[13:14]
	s_waitcnt lgkmcnt(0)
	s_barrier
	buffer_gl0_inv
	ds_load_b64 v[13:14], v15
	s_waitcnt lgkmcnt(0)
	s_barrier
	buffer_gl0_inv
	ds_store_2addr_b32 v20, v4, v4 offset1:162
	s_and_saveexec_b32 s13, vcc_lo
	s_cbranch_execz .LBB44_67
; %bb.61:
	v_mov_b32_e32 v1, 0
	v_cmp_gt_u32_e64 s12, 0x32a, v0
	ds_store_b32 v20, v1 offset:1296
	s_and_b32 exec_lo, exec_lo, s12
	s_cbranch_execz .LBB44_67
; %bb.62:
	v_cmp_gt_u32_e64 s12, 0x288, v0
	ds_store_b32 v20, v1 offset:1944
	s_and_b32 exec_lo, exec_lo, s12
	s_cbranch_execz .LBB44_67
; %bb.63:
	v_mov_b32_e32 v1, 0
	v_cmp_gt_u32_e64 s12, 0x1e6, v0
	ds_store_b32 v20, v1 offset:2592
	s_and_b32 exec_lo, exec_lo, s12
	s_cbranch_execz .LBB44_67
; %bb.64:
	v_cmp_gt_u32_e64 s12, 0x144, v0
	ds_store_b32 v20, v1 offset:3240
	s_and_b32 exec_lo, exec_lo, s12
	s_cbranch_execz .LBB44_67
; %bb.65:
	v_mov_b32_e32 v1, 0
	v_cmp_gt_u32_e64 s12, 0xa2, v0
	ds_store_b32 v20, v1 offset:3888
	s_and_b32 exec_lo, exec_lo, s12
	s_cbranch_execz .LBB44_67
; %bb.66:
	ds_store_b32 v20, v1 offset:4536
.LBB44_67:
	s_or_b32 exec_lo, exec_lo, s13
	v_bfe_u32 v1, v21, 12, 3
	v_lshrrev_b32_e32 v2, 14, v21
	s_delay_alu instid0(VALU_DEP_2) | instskip(NEXT) | instid1(VALU_DEP_2)
	v_mad_u32_u24 v1, 0xa2, v1, v0
	v_and_b32_e32 v2, 2, v2
	s_delay_alu instid0(VALU_DEP_1)
	v_lshl_or_b32 v22, v1, 2, v2
	ds_load_u16 v23, v22
	s_waitcnt lgkmcnt(0)
	v_add_nc_u16 v1, v23, 1
	ds_store_b16 v22, v1
	s_waitcnt lgkmcnt(0)
	s_barrier
	buffer_gl0_inv
	ds_load_2addr_b64 v[5:8], v16 offset1:1
	ds_load_2addr_b64 v[1:4], v16 offset0:2 offset1:3
	s_waitcnt lgkmcnt(1)
	v_add_nc_u32_e32 v24, v6, v5
	s_delay_alu instid0(VALU_DEP_1) | instskip(SKIP_1) | instid1(VALU_DEP_1)
	v_add3_u32 v24, v24, v7, v8
	s_waitcnt lgkmcnt(0)
	v_add3_u32 v24, v24, v1, v2
	s_delay_alu instid0(VALU_DEP_1) | instskip(NEXT) | instid1(VALU_DEP_1)
	v_add3_u32 v4, v24, v3, v4
	v_mov_b32_dpp v24, v4 row_shr:1 row_mask:0xf bank_mask:0xf
	s_delay_alu instid0(VALU_DEP_1) | instskip(NEXT) | instid1(VALU_DEP_1)
	v_cndmask_b32_e64 v24, v24, 0, s9
	v_add_nc_u32_e32 v4, v24, v4
	s_delay_alu instid0(VALU_DEP_1) | instskip(NEXT) | instid1(VALU_DEP_1)
	v_mov_b32_dpp v24, v4 row_shr:2 row_mask:0xf bank_mask:0xf
	v_cndmask_b32_e64 v24, 0, v24, s7
	s_delay_alu instid0(VALU_DEP_1) | instskip(NEXT) | instid1(VALU_DEP_1)
	v_add_nc_u32_e32 v4, v4, v24
	v_mov_b32_dpp v24, v4 row_shr:4 row_mask:0xf bank_mask:0xf
	s_delay_alu instid0(VALU_DEP_1) | instskip(NEXT) | instid1(VALU_DEP_1)
	v_cndmask_b32_e64 v24, 0, v24, s11
	v_add_nc_u32_e32 v4, v4, v24
	s_delay_alu instid0(VALU_DEP_1) | instskip(NEXT) | instid1(VALU_DEP_1)
	v_mov_b32_dpp v24, v4 row_shr:8 row_mask:0xf bank_mask:0xf
	v_cndmask_b32_e64 v24, 0, v24, s10
	s_delay_alu instid0(VALU_DEP_1) | instskip(SKIP_3) | instid1(VALU_DEP_1)
	v_add_nc_u32_e32 v4, v4, v24
	ds_swizzle_b32 v24, v4 offset:swizzle(BROADCAST,32,15)
	s_waitcnt lgkmcnt(0)
	v_cndmask_b32_e64 v24, v24, 0, s8
	v_add_nc_u32_e32 v24, v4, v24
	s_and_saveexec_b32 s12, s6
	s_cbranch_execz .LBB44_69
; %bb.68:
	ds_store_b32 v19, v24 offset:5184
.LBB44_69:
	s_or_b32 exec_lo, exec_lo, s12
	s_waitcnt lgkmcnt(0)
	s_barrier
	buffer_gl0_inv
	s_and_saveexec_b32 s12, s2
	s_cbranch_execz .LBB44_71
; %bb.70:
	ds_load_b32 v4, v17 offset:5184
	s_waitcnt lgkmcnt(0)
	v_mov_b32_dpp v25, v4 row_shr:1 row_mask:0xf bank_mask:0xf
	s_delay_alu instid0(VALU_DEP_1) | instskip(NEXT) | instid1(VALU_DEP_1)
	v_cndmask_b32_e64 v25, v25, 0, s5
	v_add_nc_u32_e32 v4, v25, v4
	s_delay_alu instid0(VALU_DEP_1) | instskip(NEXT) | instid1(VALU_DEP_1)
	v_mov_b32_dpp v25, v4 row_shr:2 row_mask:0xf bank_mask:0xf
	v_cndmask_b32_e64 v25, 0, v25, s4
	s_delay_alu instid0(VALU_DEP_1) | instskip(NEXT) | instid1(VALU_DEP_1)
	v_add_nc_u32_e32 v4, v4, v25
	v_mov_b32_dpp v25, v4 row_shr:4 row_mask:0xf bank_mask:0xf
	s_delay_alu instid0(VALU_DEP_1) | instskip(NEXT) | instid1(VALU_DEP_1)
	v_cndmask_b32_e64 v25, 0, v25, s3
	v_add_nc_u32_e32 v4, v4, v25
	ds_store_b32 v17, v4 offset:5184
.LBB44_71:
	s_or_b32 exec_lo, exec_lo, s12
	v_dual_mov_b32 v4, 0 :: v_dual_mov_b32 v25, 0
	s_waitcnt lgkmcnt(0)
	s_barrier
	buffer_gl0_inv
	s_and_saveexec_b32 s12, s1
	s_cbranch_execz .LBB44_73
; %bb.72:
	ds_load_b32 v25, v19 offset:5180
.LBB44_73:
	s_or_b32 exec_lo, exec_lo, s12
	s_waitcnt lgkmcnt(0)
	v_add_nc_u32_e32 v24, v25, v24
	ds_load_b32 v26, v4 offset:5204
	ds_bpermute_b32 v24, v18, v24
	s_waitcnt lgkmcnt(0)
	v_cndmask_b32_e64 v24, v24, v25, s0
	s_delay_alu instid0(VALU_DEP_1) | instskip(NEXT) | instid1(VALU_DEP_1)
	v_lshl_add_u32 v24, v26, 16, v24
	v_add_nc_u32_e32 v25, v24, v5
	s_delay_alu instid0(VALU_DEP_1) | instskip(NEXT) | instid1(VALU_DEP_1)
	v_add_nc_u32_e32 v5, v25, v6
	v_add_nc_u32_e32 v6, v5, v7
	s_delay_alu instid0(VALU_DEP_1) | instskip(NEXT) | instid1(VALU_DEP_1)
	v_add_nc_u32_e32 v7, v6, v8
	;; [unrolled: 3-line block ×3, first 2 shown]
	v_add_nc_u32_e32 v2, v1, v3
	ds_store_2addr_b64 v16, v[24:25], v[5:6] offset1:1
	ds_store_2addr_b64 v16, v[7:8], v[1:2] offset0:2 offset1:3
	s_waitcnt lgkmcnt(0)
	s_barrier
	buffer_gl0_inv
	ds_load_u16 v1, v22
	v_and_b32_e32 v2, 0xffff, v23
	s_waitcnt lgkmcnt(0)
	s_barrier
	buffer_gl0_inv
	v_add_lshl_u32 v1, v1, v2, 2
	ds_store_b32 v1, v21
	v_add_nc_u32_e32 v1, v1, v1
	s_waitcnt lgkmcnt(0)
	s_barrier
	buffer_gl0_inv
	ds_load_b32 v21, v17
	s_waitcnt lgkmcnt(0)
	s_barrier
	buffer_gl0_inv
	ds_store_b64 v1, v[13:14]
	s_waitcnt lgkmcnt(0)
	s_barrier
	buffer_gl0_inv
	ds_load_b64 v[13:14], v15
	s_waitcnt lgkmcnt(0)
	s_barrier
	buffer_gl0_inv
	ds_store_2addr_b32 v20, v4, v4 offset1:162
	s_and_saveexec_b32 s13, vcc_lo
	s_cbranch_execz .LBB44_80
; %bb.74:
	v_mov_b32_e32 v1, 0
	v_cmp_gt_u32_e64 s12, 0x32a, v0
	ds_store_b32 v20, v1 offset:1296
	s_and_b32 exec_lo, exec_lo, s12
	s_cbranch_execz .LBB44_80
; %bb.75:
	v_cmp_gt_u32_e64 s12, 0x288, v0
	ds_store_b32 v20, v1 offset:1944
	s_and_b32 exec_lo, exec_lo, s12
	s_cbranch_execz .LBB44_80
; %bb.76:
	v_mov_b32_e32 v1, 0
	v_cmp_gt_u32_e64 s12, 0x1e6, v0
	ds_store_b32 v20, v1 offset:2592
	s_and_b32 exec_lo, exec_lo, s12
	s_cbranch_execz .LBB44_80
; %bb.77:
	v_cmp_gt_u32_e64 s12, 0x144, v0
	ds_store_b32 v20, v1 offset:3240
	s_and_b32 exec_lo, exec_lo, s12
	s_cbranch_execz .LBB44_80
; %bb.78:
	v_mov_b32_e32 v1, 0
	v_cmp_gt_u32_e64 s12, 0xa2, v0
	ds_store_b32 v20, v1 offset:3888
	s_and_b32 exec_lo, exec_lo, s12
	s_cbranch_execz .LBB44_80
; %bb.79:
	ds_store_b32 v20, v1 offset:4536
.LBB44_80:
	s_or_b32 exec_lo, exec_lo, s13
	v_bfe_u32 v1, v21, 16, 3
	v_lshrrev_b32_e32 v2, 18, v21
	s_delay_alu instid0(VALU_DEP_2) | instskip(NEXT) | instid1(VALU_DEP_2)
	v_mad_u32_u24 v1, 0xa2, v1, v0
	v_and_b32_e32 v2, 2, v2
	s_delay_alu instid0(VALU_DEP_1)
	v_lshl_or_b32 v22, v1, 2, v2
	ds_load_u16 v23, v22
	s_waitcnt lgkmcnt(0)
	v_add_nc_u16 v1, v23, 1
	ds_store_b16 v22, v1
	s_waitcnt lgkmcnt(0)
	s_barrier
	buffer_gl0_inv
	ds_load_2addr_b64 v[5:8], v16 offset1:1
	ds_load_2addr_b64 v[1:4], v16 offset0:2 offset1:3
	s_waitcnt lgkmcnt(1)
	v_add_nc_u32_e32 v24, v6, v5
	s_delay_alu instid0(VALU_DEP_1) | instskip(SKIP_1) | instid1(VALU_DEP_1)
	v_add3_u32 v24, v24, v7, v8
	s_waitcnt lgkmcnt(0)
	v_add3_u32 v24, v24, v1, v2
	s_delay_alu instid0(VALU_DEP_1) | instskip(NEXT) | instid1(VALU_DEP_1)
	v_add3_u32 v4, v24, v3, v4
	v_mov_b32_dpp v24, v4 row_shr:1 row_mask:0xf bank_mask:0xf
	s_delay_alu instid0(VALU_DEP_1) | instskip(NEXT) | instid1(VALU_DEP_1)
	v_cndmask_b32_e64 v24, v24, 0, s9
	v_add_nc_u32_e32 v4, v24, v4
	s_delay_alu instid0(VALU_DEP_1) | instskip(NEXT) | instid1(VALU_DEP_1)
	v_mov_b32_dpp v24, v4 row_shr:2 row_mask:0xf bank_mask:0xf
	v_cndmask_b32_e64 v24, 0, v24, s7
	s_delay_alu instid0(VALU_DEP_1) | instskip(NEXT) | instid1(VALU_DEP_1)
	v_add_nc_u32_e32 v4, v4, v24
	v_mov_b32_dpp v24, v4 row_shr:4 row_mask:0xf bank_mask:0xf
	s_delay_alu instid0(VALU_DEP_1) | instskip(NEXT) | instid1(VALU_DEP_1)
	v_cndmask_b32_e64 v24, 0, v24, s11
	v_add_nc_u32_e32 v4, v4, v24
	s_delay_alu instid0(VALU_DEP_1) | instskip(NEXT) | instid1(VALU_DEP_1)
	v_mov_b32_dpp v24, v4 row_shr:8 row_mask:0xf bank_mask:0xf
	v_cndmask_b32_e64 v24, 0, v24, s10
	s_delay_alu instid0(VALU_DEP_1) | instskip(SKIP_3) | instid1(VALU_DEP_1)
	v_add_nc_u32_e32 v4, v4, v24
	ds_swizzle_b32 v24, v4 offset:swizzle(BROADCAST,32,15)
	s_waitcnt lgkmcnt(0)
	v_cndmask_b32_e64 v24, v24, 0, s8
	v_add_nc_u32_e32 v24, v4, v24
	s_and_saveexec_b32 s12, s6
	s_cbranch_execz .LBB44_82
; %bb.81:
	ds_store_b32 v19, v24 offset:5184
.LBB44_82:
	s_or_b32 exec_lo, exec_lo, s12
	s_waitcnt lgkmcnt(0)
	s_barrier
	buffer_gl0_inv
	s_and_saveexec_b32 s12, s2
	s_cbranch_execz .LBB44_84
; %bb.83:
	ds_load_b32 v4, v17 offset:5184
	s_waitcnt lgkmcnt(0)
	v_mov_b32_dpp v25, v4 row_shr:1 row_mask:0xf bank_mask:0xf
	s_delay_alu instid0(VALU_DEP_1) | instskip(NEXT) | instid1(VALU_DEP_1)
	v_cndmask_b32_e64 v25, v25, 0, s5
	v_add_nc_u32_e32 v4, v25, v4
	s_delay_alu instid0(VALU_DEP_1) | instskip(NEXT) | instid1(VALU_DEP_1)
	v_mov_b32_dpp v25, v4 row_shr:2 row_mask:0xf bank_mask:0xf
	v_cndmask_b32_e64 v25, 0, v25, s4
	s_delay_alu instid0(VALU_DEP_1) | instskip(NEXT) | instid1(VALU_DEP_1)
	v_add_nc_u32_e32 v4, v4, v25
	v_mov_b32_dpp v25, v4 row_shr:4 row_mask:0xf bank_mask:0xf
	s_delay_alu instid0(VALU_DEP_1) | instskip(NEXT) | instid1(VALU_DEP_1)
	v_cndmask_b32_e64 v25, 0, v25, s3
	v_add_nc_u32_e32 v4, v4, v25
	ds_store_b32 v17, v4 offset:5184
.LBB44_84:
	s_or_b32 exec_lo, exec_lo, s12
	v_dual_mov_b32 v4, 0 :: v_dual_mov_b32 v25, 0
	s_waitcnt lgkmcnt(0)
	s_barrier
	buffer_gl0_inv
	s_and_saveexec_b32 s12, s1
	s_cbranch_execz .LBB44_86
; %bb.85:
	ds_load_b32 v25, v19 offset:5180
.LBB44_86:
	s_or_b32 exec_lo, exec_lo, s12
	s_waitcnt lgkmcnt(0)
	v_add_nc_u32_e32 v24, v25, v24
	ds_load_b32 v26, v4 offset:5204
	ds_bpermute_b32 v24, v18, v24
	s_waitcnt lgkmcnt(0)
	v_cndmask_b32_e64 v24, v24, v25, s0
	s_delay_alu instid0(VALU_DEP_1) | instskip(NEXT) | instid1(VALU_DEP_1)
	v_lshl_add_u32 v24, v26, 16, v24
	v_add_nc_u32_e32 v25, v24, v5
	s_delay_alu instid0(VALU_DEP_1) | instskip(NEXT) | instid1(VALU_DEP_1)
	v_add_nc_u32_e32 v5, v25, v6
	v_add_nc_u32_e32 v6, v5, v7
	s_delay_alu instid0(VALU_DEP_1) | instskip(NEXT) | instid1(VALU_DEP_1)
	v_add_nc_u32_e32 v7, v6, v8
	;; [unrolled: 3-line block ×3, first 2 shown]
	v_add_nc_u32_e32 v2, v1, v3
	ds_store_2addr_b64 v16, v[24:25], v[5:6] offset1:1
	ds_store_2addr_b64 v16, v[7:8], v[1:2] offset0:2 offset1:3
	s_waitcnt lgkmcnt(0)
	s_barrier
	buffer_gl0_inv
	ds_load_u16 v1, v22
	v_and_b32_e32 v2, 0xffff, v23
	s_waitcnt lgkmcnt(0)
	s_barrier
	buffer_gl0_inv
	v_add_lshl_u32 v1, v1, v2, 2
	ds_store_b32 v1, v21
	v_add_nc_u32_e32 v1, v1, v1
	s_waitcnt lgkmcnt(0)
	s_barrier
	buffer_gl0_inv
	ds_load_b32 v21, v17
	s_waitcnt lgkmcnt(0)
	s_barrier
	buffer_gl0_inv
	ds_store_b64 v1, v[13:14]
	s_waitcnt lgkmcnt(0)
	s_barrier
	buffer_gl0_inv
	ds_load_b64 v[13:14], v15
	s_waitcnt lgkmcnt(0)
	s_barrier
	buffer_gl0_inv
	ds_store_2addr_b32 v20, v4, v4 offset1:162
	s_and_saveexec_b32 s13, vcc_lo
	s_cbranch_execz .LBB44_93
; %bb.87:
	v_mov_b32_e32 v1, 0
	v_cmp_gt_u32_e64 s12, 0x32a, v0
	ds_store_b32 v20, v1 offset:1296
	s_and_b32 exec_lo, exec_lo, s12
	s_cbranch_execz .LBB44_93
; %bb.88:
	v_cmp_gt_u32_e64 s12, 0x288, v0
	ds_store_b32 v20, v1 offset:1944
	s_and_b32 exec_lo, exec_lo, s12
	s_cbranch_execz .LBB44_93
; %bb.89:
	v_mov_b32_e32 v1, 0
	v_cmp_gt_u32_e64 s12, 0x1e6, v0
	ds_store_b32 v20, v1 offset:2592
	s_and_b32 exec_lo, exec_lo, s12
	s_cbranch_execz .LBB44_93
; %bb.90:
	v_cmp_gt_u32_e64 s12, 0x144, v0
	ds_store_b32 v20, v1 offset:3240
	s_and_b32 exec_lo, exec_lo, s12
	s_cbranch_execz .LBB44_93
; %bb.91:
	v_mov_b32_e32 v1, 0
	v_cmp_gt_u32_e64 s12, 0xa2, v0
	ds_store_b32 v20, v1 offset:3888
	s_and_b32 exec_lo, exec_lo, s12
	s_cbranch_execz .LBB44_93
; %bb.92:
	ds_store_b32 v20, v1 offset:4536
.LBB44_93:
	s_or_b32 exec_lo, exec_lo, s13
	v_bfe_u32 v1, v21, 20, 3
	v_lshrrev_b32_e32 v2, 22, v21
	s_delay_alu instid0(VALU_DEP_2) | instskip(NEXT) | instid1(VALU_DEP_2)
	v_mad_u32_u24 v1, 0xa2, v1, v0
	v_and_b32_e32 v2, 2, v2
	s_delay_alu instid0(VALU_DEP_1)
	v_lshl_or_b32 v22, v1, 2, v2
	ds_load_u16 v23, v22
	s_waitcnt lgkmcnt(0)
	v_add_nc_u16 v1, v23, 1
	ds_store_b16 v22, v1
	s_waitcnt lgkmcnt(0)
	s_barrier
	buffer_gl0_inv
	ds_load_2addr_b64 v[5:8], v16 offset1:1
	ds_load_2addr_b64 v[1:4], v16 offset0:2 offset1:3
	s_waitcnt lgkmcnt(1)
	v_add_nc_u32_e32 v24, v6, v5
	s_delay_alu instid0(VALU_DEP_1) | instskip(SKIP_1) | instid1(VALU_DEP_1)
	v_add3_u32 v24, v24, v7, v8
	s_waitcnt lgkmcnt(0)
	v_add3_u32 v24, v24, v1, v2
	s_delay_alu instid0(VALU_DEP_1) | instskip(NEXT) | instid1(VALU_DEP_1)
	v_add3_u32 v4, v24, v3, v4
	v_mov_b32_dpp v24, v4 row_shr:1 row_mask:0xf bank_mask:0xf
	s_delay_alu instid0(VALU_DEP_1) | instskip(NEXT) | instid1(VALU_DEP_1)
	v_cndmask_b32_e64 v24, v24, 0, s9
	v_add_nc_u32_e32 v4, v24, v4
	s_delay_alu instid0(VALU_DEP_1) | instskip(NEXT) | instid1(VALU_DEP_1)
	v_mov_b32_dpp v24, v4 row_shr:2 row_mask:0xf bank_mask:0xf
	v_cndmask_b32_e64 v24, 0, v24, s7
	s_delay_alu instid0(VALU_DEP_1) | instskip(NEXT) | instid1(VALU_DEP_1)
	v_add_nc_u32_e32 v4, v4, v24
	v_mov_b32_dpp v24, v4 row_shr:4 row_mask:0xf bank_mask:0xf
	s_delay_alu instid0(VALU_DEP_1) | instskip(NEXT) | instid1(VALU_DEP_1)
	v_cndmask_b32_e64 v24, 0, v24, s11
	v_add_nc_u32_e32 v4, v4, v24
	s_delay_alu instid0(VALU_DEP_1) | instskip(NEXT) | instid1(VALU_DEP_1)
	v_mov_b32_dpp v24, v4 row_shr:8 row_mask:0xf bank_mask:0xf
	v_cndmask_b32_e64 v24, 0, v24, s10
	s_delay_alu instid0(VALU_DEP_1) | instskip(SKIP_3) | instid1(VALU_DEP_1)
	v_add_nc_u32_e32 v4, v4, v24
	ds_swizzle_b32 v24, v4 offset:swizzle(BROADCAST,32,15)
	s_waitcnt lgkmcnt(0)
	v_cndmask_b32_e64 v24, v24, 0, s8
	v_add_nc_u32_e32 v24, v4, v24
	s_and_saveexec_b32 s12, s6
	s_cbranch_execz .LBB44_95
; %bb.94:
	ds_store_b32 v19, v24 offset:5184
.LBB44_95:
	s_or_b32 exec_lo, exec_lo, s12
	s_waitcnt lgkmcnt(0)
	s_barrier
	buffer_gl0_inv
	s_and_saveexec_b32 s12, s2
	s_cbranch_execz .LBB44_97
; %bb.96:
	ds_load_b32 v4, v17 offset:5184
	s_waitcnt lgkmcnt(0)
	v_mov_b32_dpp v25, v4 row_shr:1 row_mask:0xf bank_mask:0xf
	s_delay_alu instid0(VALU_DEP_1) | instskip(NEXT) | instid1(VALU_DEP_1)
	v_cndmask_b32_e64 v25, v25, 0, s5
	v_add_nc_u32_e32 v4, v25, v4
	s_delay_alu instid0(VALU_DEP_1) | instskip(NEXT) | instid1(VALU_DEP_1)
	v_mov_b32_dpp v25, v4 row_shr:2 row_mask:0xf bank_mask:0xf
	v_cndmask_b32_e64 v25, 0, v25, s4
	s_delay_alu instid0(VALU_DEP_1) | instskip(NEXT) | instid1(VALU_DEP_1)
	v_add_nc_u32_e32 v4, v4, v25
	v_mov_b32_dpp v25, v4 row_shr:4 row_mask:0xf bank_mask:0xf
	s_delay_alu instid0(VALU_DEP_1) | instskip(NEXT) | instid1(VALU_DEP_1)
	v_cndmask_b32_e64 v25, 0, v25, s3
	v_add_nc_u32_e32 v4, v4, v25
	ds_store_b32 v17, v4 offset:5184
.LBB44_97:
	s_or_b32 exec_lo, exec_lo, s12
	v_dual_mov_b32 v4, 0 :: v_dual_mov_b32 v25, 0
	s_waitcnt lgkmcnt(0)
	s_barrier
	buffer_gl0_inv
	s_and_saveexec_b32 s12, s1
	s_cbranch_execz .LBB44_99
; %bb.98:
	ds_load_b32 v25, v19 offset:5180
.LBB44_99:
	s_or_b32 exec_lo, exec_lo, s12
	s_waitcnt lgkmcnt(0)
	v_add_nc_u32_e32 v24, v25, v24
	ds_load_b32 v26, v4 offset:5204
	ds_bpermute_b32 v24, v18, v24
	s_waitcnt lgkmcnt(0)
	v_cndmask_b32_e64 v24, v24, v25, s0
	s_delay_alu instid0(VALU_DEP_1) | instskip(NEXT) | instid1(VALU_DEP_1)
	v_lshl_add_u32 v24, v26, 16, v24
	v_add_nc_u32_e32 v25, v24, v5
	s_delay_alu instid0(VALU_DEP_1) | instskip(NEXT) | instid1(VALU_DEP_1)
	v_add_nc_u32_e32 v5, v25, v6
	v_add_nc_u32_e32 v6, v5, v7
	s_delay_alu instid0(VALU_DEP_1) | instskip(NEXT) | instid1(VALU_DEP_1)
	v_add_nc_u32_e32 v7, v6, v8
	;; [unrolled: 3-line block ×3, first 2 shown]
	v_add_nc_u32_e32 v2, v1, v3
	ds_store_2addr_b64 v16, v[24:25], v[5:6] offset1:1
	ds_store_2addr_b64 v16, v[7:8], v[1:2] offset0:2 offset1:3
	s_waitcnt lgkmcnt(0)
	s_barrier
	buffer_gl0_inv
	ds_load_u16 v1, v22
	v_and_b32_e32 v2, 0xffff, v23
	s_waitcnt lgkmcnt(0)
	s_barrier
	buffer_gl0_inv
	v_add_lshl_u32 v1, v1, v2, 2
	ds_store_b32 v1, v21
	v_add_nc_u32_e32 v1, v1, v1
	s_waitcnt lgkmcnt(0)
	s_barrier
	buffer_gl0_inv
	ds_load_b32 v21, v17
	s_waitcnt lgkmcnt(0)
	s_barrier
	buffer_gl0_inv
	ds_store_b64 v1, v[13:14]
	s_waitcnt lgkmcnt(0)
	s_barrier
	buffer_gl0_inv
	ds_load_b64 v[13:14], v15
	s_waitcnt lgkmcnt(0)
	s_barrier
	buffer_gl0_inv
	ds_store_2addr_b32 v20, v4, v4 offset1:162
	s_and_saveexec_b32 s13, vcc_lo
	s_cbranch_execz .LBB44_106
; %bb.100:
	v_mov_b32_e32 v1, 0
	v_cmp_gt_u32_e64 s12, 0x32a, v0
	ds_store_b32 v20, v1 offset:1296
	s_and_b32 exec_lo, exec_lo, s12
	s_cbranch_execz .LBB44_106
; %bb.101:
	v_cmp_gt_u32_e64 s12, 0x288, v0
	ds_store_b32 v20, v1 offset:1944
	s_and_b32 exec_lo, exec_lo, s12
	s_cbranch_execz .LBB44_106
; %bb.102:
	v_mov_b32_e32 v1, 0
	v_cmp_gt_u32_e64 s12, 0x1e6, v0
	ds_store_b32 v20, v1 offset:2592
	s_and_b32 exec_lo, exec_lo, s12
	s_cbranch_execz .LBB44_106
; %bb.103:
	v_cmp_gt_u32_e64 s12, 0x144, v0
	ds_store_b32 v20, v1 offset:3240
	s_and_b32 exec_lo, exec_lo, s12
	s_cbranch_execz .LBB44_106
; %bb.104:
	v_mov_b32_e32 v1, 0
	v_cmp_gt_u32_e64 s12, 0xa2, v0
	ds_store_b32 v20, v1 offset:3888
	s_and_b32 exec_lo, exec_lo, s12
	s_cbranch_execz .LBB44_106
; %bb.105:
	ds_store_b32 v20, v1 offset:4536
.LBB44_106:
	s_or_b32 exec_lo, exec_lo, s13
	v_bfe_u32 v1, v21, 24, 3
	v_lshrrev_b32_e32 v2, 26, v21
	s_delay_alu instid0(VALU_DEP_2) | instskip(NEXT) | instid1(VALU_DEP_2)
	v_mad_u32_u24 v1, 0xa2, v1, v0
	v_and_b32_e32 v2, 2, v2
	s_delay_alu instid0(VALU_DEP_1)
	v_lshl_or_b32 v22, v1, 2, v2
	ds_load_u16 v23, v22
	s_waitcnt lgkmcnt(0)
	v_add_nc_u16 v1, v23, 1
	ds_store_b16 v22, v1
	s_waitcnt lgkmcnt(0)
	s_barrier
	buffer_gl0_inv
	ds_load_2addr_b64 v[5:8], v16 offset1:1
	ds_load_2addr_b64 v[1:4], v16 offset0:2 offset1:3
	s_waitcnt lgkmcnt(1)
	v_add_nc_u32_e32 v24, v6, v5
	s_delay_alu instid0(VALU_DEP_1) | instskip(SKIP_1) | instid1(VALU_DEP_1)
	v_add3_u32 v24, v24, v7, v8
	s_waitcnt lgkmcnt(0)
	v_add3_u32 v24, v24, v1, v2
	s_delay_alu instid0(VALU_DEP_1) | instskip(NEXT) | instid1(VALU_DEP_1)
	v_add3_u32 v4, v24, v3, v4
	v_mov_b32_dpp v24, v4 row_shr:1 row_mask:0xf bank_mask:0xf
	s_delay_alu instid0(VALU_DEP_1) | instskip(NEXT) | instid1(VALU_DEP_1)
	v_cndmask_b32_e64 v24, v24, 0, s9
	v_add_nc_u32_e32 v4, v24, v4
	s_delay_alu instid0(VALU_DEP_1) | instskip(NEXT) | instid1(VALU_DEP_1)
	v_mov_b32_dpp v24, v4 row_shr:2 row_mask:0xf bank_mask:0xf
	v_cndmask_b32_e64 v24, 0, v24, s7
	s_delay_alu instid0(VALU_DEP_1) | instskip(NEXT) | instid1(VALU_DEP_1)
	v_add_nc_u32_e32 v4, v4, v24
	v_mov_b32_dpp v24, v4 row_shr:4 row_mask:0xf bank_mask:0xf
	s_delay_alu instid0(VALU_DEP_1) | instskip(NEXT) | instid1(VALU_DEP_1)
	v_cndmask_b32_e64 v24, 0, v24, s11
	v_add_nc_u32_e32 v4, v4, v24
	s_delay_alu instid0(VALU_DEP_1) | instskip(NEXT) | instid1(VALU_DEP_1)
	v_mov_b32_dpp v24, v4 row_shr:8 row_mask:0xf bank_mask:0xf
	v_cndmask_b32_e64 v24, 0, v24, s10
	s_delay_alu instid0(VALU_DEP_1) | instskip(SKIP_3) | instid1(VALU_DEP_1)
	v_add_nc_u32_e32 v4, v4, v24
	ds_swizzle_b32 v24, v4 offset:swizzle(BROADCAST,32,15)
	s_waitcnt lgkmcnt(0)
	v_cndmask_b32_e64 v24, v24, 0, s8
	v_add_nc_u32_e32 v24, v4, v24
	s_and_saveexec_b32 s12, s6
	s_cbranch_execz .LBB44_108
; %bb.107:
	ds_store_b32 v19, v24 offset:5184
.LBB44_108:
	s_or_b32 exec_lo, exec_lo, s12
	s_waitcnt lgkmcnt(0)
	s_barrier
	buffer_gl0_inv
	s_and_saveexec_b32 s12, s2
	s_cbranch_execz .LBB44_110
; %bb.109:
	ds_load_b32 v4, v17 offset:5184
	s_waitcnt lgkmcnt(0)
	v_mov_b32_dpp v25, v4 row_shr:1 row_mask:0xf bank_mask:0xf
	s_delay_alu instid0(VALU_DEP_1) | instskip(NEXT) | instid1(VALU_DEP_1)
	v_cndmask_b32_e64 v25, v25, 0, s5
	v_add_nc_u32_e32 v4, v25, v4
	s_delay_alu instid0(VALU_DEP_1) | instskip(NEXT) | instid1(VALU_DEP_1)
	v_mov_b32_dpp v25, v4 row_shr:2 row_mask:0xf bank_mask:0xf
	v_cndmask_b32_e64 v25, 0, v25, s4
	s_delay_alu instid0(VALU_DEP_1) | instskip(NEXT) | instid1(VALU_DEP_1)
	v_add_nc_u32_e32 v4, v4, v25
	v_mov_b32_dpp v25, v4 row_shr:4 row_mask:0xf bank_mask:0xf
	s_delay_alu instid0(VALU_DEP_1) | instskip(NEXT) | instid1(VALU_DEP_1)
	v_cndmask_b32_e64 v25, 0, v25, s3
	v_add_nc_u32_e32 v4, v4, v25
	ds_store_b32 v17, v4 offset:5184
.LBB44_110:
	s_or_b32 exec_lo, exec_lo, s12
	v_dual_mov_b32 v4, 0 :: v_dual_mov_b32 v25, 0
	s_waitcnt lgkmcnt(0)
	s_barrier
	buffer_gl0_inv
	s_and_saveexec_b32 s12, s1
	s_cbranch_execz .LBB44_112
; %bb.111:
	ds_load_b32 v25, v19 offset:5180
.LBB44_112:
	s_or_b32 exec_lo, exec_lo, s12
	s_waitcnt lgkmcnt(0)
	v_add_nc_u32_e32 v24, v25, v24
	ds_load_b32 v26, v4 offset:5204
	ds_bpermute_b32 v24, v18, v24
	s_waitcnt lgkmcnt(0)
	v_cndmask_b32_e64 v24, v24, v25, s0
	s_delay_alu instid0(VALU_DEP_1) | instskip(NEXT) | instid1(VALU_DEP_1)
	v_lshl_add_u32 v24, v26, 16, v24
	v_add_nc_u32_e32 v25, v24, v5
	s_delay_alu instid0(VALU_DEP_1) | instskip(NEXT) | instid1(VALU_DEP_1)
	v_add_nc_u32_e32 v5, v25, v6
	v_add_nc_u32_e32 v6, v5, v7
	s_delay_alu instid0(VALU_DEP_1) | instskip(NEXT) | instid1(VALU_DEP_1)
	v_add_nc_u32_e32 v7, v6, v8
	;; [unrolled: 3-line block ×3, first 2 shown]
	v_add_nc_u32_e32 v2, v1, v3
	ds_store_2addr_b64 v16, v[24:25], v[5:6] offset1:1
	ds_store_2addr_b64 v16, v[7:8], v[1:2] offset0:2 offset1:3
	s_waitcnt lgkmcnt(0)
	s_barrier
	buffer_gl0_inv
	ds_load_u16 v1, v22
	v_and_b32_e32 v2, 0xffff, v23
	s_waitcnt lgkmcnt(0)
	s_barrier
	buffer_gl0_inv
	v_add_lshl_u32 v1, v1, v2, 2
	ds_store_b32 v1, v21
	v_add_nc_u32_e32 v1, v1, v1
	s_waitcnt lgkmcnt(0)
	s_barrier
	buffer_gl0_inv
	ds_load_b32 v8, v17
	s_waitcnt lgkmcnt(0)
	s_barrier
	buffer_gl0_inv
	ds_store_b64 v1, v[13:14]
	s_waitcnt lgkmcnt(0)
	s_barrier
	buffer_gl0_inv
	ds_load_b64 v[13:14], v15
	s_waitcnt lgkmcnt(0)
	s_barrier
	buffer_gl0_inv
	ds_store_2addr_b32 v20, v4, v4 offset1:162
	s_and_saveexec_b32 s12, vcc_lo
	s_cbranch_execz .LBB44_119
; %bb.113:
	v_mov_b32_e32 v1, 0
	v_cmp_gt_u32_e32 vcc_lo, 0x32a, v0
	ds_store_b32 v20, v1 offset:1296
	s_and_b32 exec_lo, exec_lo, vcc_lo
	s_cbranch_execz .LBB44_119
; %bb.114:
	v_cmp_gt_u32_e32 vcc_lo, 0x288, v0
	ds_store_b32 v20, v1 offset:1944
	s_and_b32 exec_lo, exec_lo, vcc_lo
	s_cbranch_execz .LBB44_119
; %bb.115:
	v_mov_b32_e32 v1, 0
	v_cmp_gt_u32_e32 vcc_lo, 0x1e6, v0
	ds_store_b32 v20, v1 offset:2592
	s_and_b32 exec_lo, exec_lo, vcc_lo
	s_cbranch_execz .LBB44_119
; %bb.116:
	v_cmp_gt_u32_e32 vcc_lo, 0x144, v0
	ds_store_b32 v20, v1 offset:3240
	s_and_b32 exec_lo, exec_lo, vcc_lo
	s_cbranch_execz .LBB44_119
; %bb.117:
	v_mov_b32_e32 v1, 0
	v_cmp_gt_u32_e32 vcc_lo, 0xa2, v0
	ds_store_b32 v20, v1 offset:3888
	s_and_b32 exec_lo, exec_lo, vcc_lo
	s_cbranch_execz .LBB44_119
; %bb.118:
	ds_store_b32 v20, v1 offset:4536
.LBB44_119:
	s_or_b32 exec_lo, exec_lo, s12
	v_bfe_u32 v1, v8, 28, 3
	s_delay_alu instid0(VALU_DEP_1) | instskip(NEXT) | instid1(VALU_DEP_1)
	v_mad_u32_u24 v0, 0xa2, v1, v0
	v_alignbit_b32 v0, v0, v8, 31
	s_delay_alu instid0(VALU_DEP_1)
	v_lshlrev_b32_e32 v20, 1, v0
	ds_load_u16 v21, v20
	s_waitcnt lgkmcnt(0)
	v_add_nc_u16 v0, v21, 1
	ds_store_b16 v20, v0
	s_waitcnt lgkmcnt(0)
	s_barrier
	buffer_gl0_inv
	ds_load_2addr_b64 v[4:7], v16 offset1:1
	ds_load_2addr_b64 v[0:3], v16 offset0:2 offset1:3
	s_waitcnt lgkmcnt(1)
	v_add_nc_u32_e32 v22, v5, v4
	s_delay_alu instid0(VALU_DEP_1) | instskip(SKIP_1) | instid1(VALU_DEP_1)
	v_add3_u32 v22, v22, v6, v7
	s_waitcnt lgkmcnt(0)
	v_add3_u32 v22, v22, v0, v1
	s_delay_alu instid0(VALU_DEP_1) | instskip(NEXT) | instid1(VALU_DEP_1)
	v_add3_u32 v3, v22, v2, v3
	v_mov_b32_dpp v22, v3 row_shr:1 row_mask:0xf bank_mask:0xf
	s_delay_alu instid0(VALU_DEP_1) | instskip(NEXT) | instid1(VALU_DEP_1)
	v_cndmask_b32_e64 v22, v22, 0, s9
	v_add_nc_u32_e32 v3, v22, v3
	s_delay_alu instid0(VALU_DEP_1) | instskip(NEXT) | instid1(VALU_DEP_1)
	v_mov_b32_dpp v22, v3 row_shr:2 row_mask:0xf bank_mask:0xf
	v_cndmask_b32_e64 v22, 0, v22, s7
	s_delay_alu instid0(VALU_DEP_1) | instskip(NEXT) | instid1(VALU_DEP_1)
	v_add_nc_u32_e32 v3, v3, v22
	v_mov_b32_dpp v22, v3 row_shr:4 row_mask:0xf bank_mask:0xf
	s_delay_alu instid0(VALU_DEP_1) | instskip(NEXT) | instid1(VALU_DEP_1)
	v_cndmask_b32_e64 v22, 0, v22, s11
	v_add_nc_u32_e32 v3, v3, v22
	s_delay_alu instid0(VALU_DEP_1) | instskip(NEXT) | instid1(VALU_DEP_1)
	v_mov_b32_dpp v22, v3 row_shr:8 row_mask:0xf bank_mask:0xf
	v_cndmask_b32_e64 v22, 0, v22, s10
	s_delay_alu instid0(VALU_DEP_1) | instskip(SKIP_3) | instid1(VALU_DEP_1)
	v_add_nc_u32_e32 v3, v3, v22
	ds_swizzle_b32 v22, v3 offset:swizzle(BROADCAST,32,15)
	s_waitcnt lgkmcnt(0)
	v_cndmask_b32_e64 v22, v22, 0, s8
	v_add_nc_u32_e32 v3, v3, v22
	s_and_saveexec_b32 s7, s6
	s_cbranch_execz .LBB44_121
; %bb.120:
	ds_store_b32 v19, v3 offset:5184
.LBB44_121:
	s_or_b32 exec_lo, exec_lo, s7
	s_waitcnt lgkmcnt(0)
	s_barrier
	buffer_gl0_inv
	s_and_saveexec_b32 s6, s2
	s_cbranch_execz .LBB44_123
; %bb.122:
	ds_load_b32 v22, v17 offset:5184
	s_waitcnt lgkmcnt(0)
	v_mov_b32_dpp v23, v22 row_shr:1 row_mask:0xf bank_mask:0xf
	s_delay_alu instid0(VALU_DEP_1) | instskip(NEXT) | instid1(VALU_DEP_1)
	v_cndmask_b32_e64 v23, v23, 0, s5
	v_add_nc_u32_e32 v22, v23, v22
	s_delay_alu instid0(VALU_DEP_1) | instskip(NEXT) | instid1(VALU_DEP_1)
	v_mov_b32_dpp v23, v22 row_shr:2 row_mask:0xf bank_mask:0xf
	v_cndmask_b32_e64 v23, 0, v23, s4
	s_delay_alu instid0(VALU_DEP_1) | instskip(NEXT) | instid1(VALU_DEP_1)
	v_add_nc_u32_e32 v22, v22, v23
	v_mov_b32_dpp v23, v22 row_shr:4 row_mask:0xf bank_mask:0xf
	s_delay_alu instid0(VALU_DEP_1) | instskip(NEXT) | instid1(VALU_DEP_1)
	v_cndmask_b32_e64 v23, 0, v23, s3
	v_add_nc_u32_e32 v22, v22, v23
	ds_store_b32 v17, v22 offset:5184
.LBB44_123:
	s_or_b32 exec_lo, exec_lo, s6
	v_dual_mov_b32 v22, 0 :: v_dual_mov_b32 v23, 0
	s_waitcnt lgkmcnt(0)
	s_barrier
	buffer_gl0_inv
	s_and_saveexec_b32 s2, s1
	s_cbranch_execz .LBB44_125
; %bb.124:
	ds_load_b32 v23, v19 offset:5180
.LBB44_125:
	s_or_b32 exec_lo, exec_lo, s2
	s_waitcnt lgkmcnt(0)
	v_add_nc_u32_e32 v3, v23, v3
	ds_bpermute_b32 v3, v18, v3
	ds_load_b32 v18, v22 offset:5204
	s_waitcnt lgkmcnt(1)
	v_cndmask_b32_e64 v3, v3, v23, s0
	s_waitcnt lgkmcnt(0)
	s_delay_alu instid0(VALU_DEP_1) | instskip(NEXT) | instid1(VALU_DEP_1)
	v_lshl_add_u32 v3, v18, 16, v3
	v_add_nc_u32_e32 v4, v3, v4
	s_delay_alu instid0(VALU_DEP_1) | instskip(NEXT) | instid1(VALU_DEP_1)
	v_add_nc_u32_e32 v5, v4, v5
	v_add_nc_u32_e32 v6, v5, v6
	s_delay_alu instid0(VALU_DEP_1) | instskip(NEXT) | instid1(VALU_DEP_1)
	v_add_nc_u32_e32 v18, v6, v7
	;; [unrolled: 3-line block ×3, first 2 shown]
	v_add_nc_u32_e32 v1, v0, v2
	ds_store_2addr_b64 v16, v[3:4], v[5:6] offset1:1
	ds_store_2addr_b64 v16, v[18:19], v[0:1] offset0:2 offset1:3
	s_waitcnt lgkmcnt(0)
	s_barrier
	buffer_gl0_inv
	ds_load_u16 v0, v20
	v_and_b32_e32 v1, 0xffff, v21
	s_waitcnt lgkmcnt(0)
	s_barrier
	buffer_gl0_inv
	v_add_lshl_u32 v0, v0, v1, 2
	ds_store_b32 v0, v8
	s_waitcnt lgkmcnt(0)
	s_barrier
	buffer_gl0_inv
	ds_load_b32 v1, v17
	v_add_nc_u32_e32 v0, v0, v0
	s_waitcnt lgkmcnt(0)
	s_barrier
	buffer_gl0_inv
	ds_store_b64 v0, v[13:14]
	s_waitcnt lgkmcnt(0)
	s_barrier
.LBB44_126:
	s_waitcnt vmcnt(0)
	buffer_gl0_inv
	ds_load_b64 v[2:3], v15
	global_store_b32 v[9:10], v1, off
	s_waitcnt lgkmcnt(0)
	global_store_b64 v[11:12], v[2:3], off
	s_nop 0
	s_sendmsg sendmsg(MSG_DEALLOC_VGPRS)
	s_endpgm
	.section	.rodata,"a",@progbits
	.p2align	6, 0x0
	.amdhsa_kernel _Z21sort_key_value_kernelILj162ELj1ELb1ELb0EjxEvPT3_PT4_jj
		.amdhsa_group_segment_fixed_size 5216
		.amdhsa_private_segment_fixed_size 0
		.amdhsa_kernarg_size 24
		.amdhsa_user_sgpr_count 15
		.amdhsa_user_sgpr_dispatch_ptr 0
		.amdhsa_user_sgpr_queue_ptr 0
		.amdhsa_user_sgpr_kernarg_segment_ptr 1
		.amdhsa_user_sgpr_dispatch_id 0
		.amdhsa_user_sgpr_private_segment_size 0
		.amdhsa_wavefront_size32 1
		.amdhsa_uses_dynamic_stack 0
		.amdhsa_enable_private_segment 0
		.amdhsa_system_sgpr_workgroup_id_x 1
		.amdhsa_system_sgpr_workgroup_id_y 0
		.amdhsa_system_sgpr_workgroup_id_z 0
		.amdhsa_system_sgpr_workgroup_info 0
		.amdhsa_system_vgpr_workitem_id 0
		.amdhsa_next_free_vgpr 27
		.amdhsa_next_free_sgpr 26
		.amdhsa_reserve_vcc 1
		.amdhsa_float_round_mode_32 0
		.amdhsa_float_round_mode_16_64 0
		.amdhsa_float_denorm_mode_32 3
		.amdhsa_float_denorm_mode_16_64 3
		.amdhsa_dx10_clamp 1
		.amdhsa_ieee_mode 1
		.amdhsa_fp16_overflow 0
		.amdhsa_workgroup_processor_mode 1
		.amdhsa_memory_ordered 1
		.amdhsa_forward_progress 0
		.amdhsa_shared_vgpr_count 0
		.amdhsa_exception_fp_ieee_invalid_op 0
		.amdhsa_exception_fp_denorm_src 0
		.amdhsa_exception_fp_ieee_div_zero 0
		.amdhsa_exception_fp_ieee_overflow 0
		.amdhsa_exception_fp_ieee_underflow 0
		.amdhsa_exception_fp_ieee_inexact 0
		.amdhsa_exception_int_div_zero 0
	.end_amdhsa_kernel
	.section	.text._Z21sort_key_value_kernelILj162ELj1ELb1ELb0EjxEvPT3_PT4_jj,"axG",@progbits,_Z21sort_key_value_kernelILj162ELj1ELb1ELb0EjxEvPT3_PT4_jj,comdat
.Lfunc_end44:
	.size	_Z21sort_key_value_kernelILj162ELj1ELb1ELb0EjxEvPT3_PT4_jj, .Lfunc_end44-_Z21sort_key_value_kernelILj162ELj1ELb1ELb0EjxEvPT3_PT4_jj
                                        ; -- End function
	.section	.AMDGPU.csdata,"",@progbits
; Kernel info:
; codeLenInByte = 8680
; NumSgprs: 28
; NumVgprs: 27
; ScratchSize: 0
; MemoryBound: 0
; FloatMode: 240
; IeeeMode: 1
; LDSByteSize: 5216 bytes/workgroup (compile time only)
; SGPRBlocks: 3
; VGPRBlocks: 3
; NumSGPRsForWavesPerEU: 28
; NumVGPRsForWavesPerEU: 27
; Occupancy: 15
; WaveLimiterHint : 0
; COMPUTE_PGM_RSRC2:SCRATCH_EN: 0
; COMPUTE_PGM_RSRC2:USER_SGPR: 15
; COMPUTE_PGM_RSRC2:TRAP_HANDLER: 0
; COMPUTE_PGM_RSRC2:TGID_X_EN: 1
; COMPUTE_PGM_RSRC2:TGID_Y_EN: 0
; COMPUTE_PGM_RSRC2:TGID_Z_EN: 0
; COMPUTE_PGM_RSRC2:TIDIG_COMP_CNT: 0
	.section	.text._Z21sort_key_value_kernelILj510ELj1ELb0ELb1ExcEvPT3_PT4_jj,"axG",@progbits,_Z21sort_key_value_kernelILj510ELj1ELb0ELb1ExcEvPT3_PT4_jj,comdat
	.protected	_Z21sort_key_value_kernelILj510ELj1ELb0ELb1ExcEvPT3_PT4_jj ; -- Begin function _Z21sort_key_value_kernelILj510ELj1ELb0ELb1ExcEvPT3_PT4_jj
	.globl	_Z21sort_key_value_kernelILj510ELj1ELb0ELb1ExcEvPT3_PT4_jj
	.p2align	8
	.type	_Z21sort_key_value_kernelILj510ELj1ELb0ELb1ExcEvPT3_PT4_jj,@function
_Z21sort_key_value_kernelILj510ELj1ELb0ELb1ExcEvPT3_PT4_jj: ; @_Z21sort_key_value_kernelILj510ELj1ELb0ELb1ExcEvPT3_PT4_jj
; %bb.0:
	s_clause 0x1
	s_load_b128 s[4:7], s[0:1], 0x0
	s_load_b64 s[16:17], s[0:1], 0x10
	s_mov_b32 s3, 0
	s_mul_i32 s2, s15, 0x1fe
	v_lshlrev_b32_e32 v13, 3, v0
	s_lshl_b64 s[8:9], s[2:3], 3
	v_mbcnt_lo_u32_b32 v3, -1, 0
	v_lshlrev_b32_e32 v17, 5, v0
	v_lshrrev_b32_e32 v8, 3, v0
	v_lshlrev_b32_e32 v14, 2, v0
	v_cmp_gt_u32_e64 s0, 16, v0
	v_add_nc_u32_e32 v7, -1, v3
	v_and_b32_e32 v4, 15, v3
	v_and_b32_e32 v5, 16, v3
	v_mad_i32_i24 v20, 0xffffffe4, v0, v17
	v_cmp_lt_u32_e64 s1, 31, v0
	v_cmp_gt_i32_e32 vcc_lo, 0, v7
	v_and_b32_e32 v6, 0x1e0, v0
	v_cmp_eq_u32_e64 s3, 0, v4
	v_and_b32_e32 v19, 60, v8
	s_waitcnt lgkmcnt(0)
	s_add_u32 s12, s4, s8
	s_addc_u32 s13, s5, s9
	s_add_u32 s14, s6, s2
	global_load_b64 v[1:2], v13, s[12:13]
	s_addc_u32 s15, s7, 0
	v_cmp_eq_u32_e64 s2, 0, v3
	v_cndmask_b32_e32 v3, v7, v3, vcc_lo
	global_load_u8 v22, v0, s[14:15]
	v_cmp_lt_u32_e64 s4, 1, v4
	v_cmp_lt_u32_e64 s5, 3, v4
	;; [unrolled: 1-line block ×3, first 2 shown]
	v_min_u32_e32 v4, 0x1de, v6
	s_cmp_eq_u32 s16, 0
	v_cmp_gt_u32_e64 s9, 0x3fc, v0
	s_cselect_b32 s8, -1, 0
	s_cmp_eq_u32 s17, 64
	v_add_nc_u32_e32 v4, 31, v4
	s_cselect_b32 s10, -1, 0
	v_cmp_eq_u32_e64 s7, 0, v5
	s_and_b32 s10, s8, s10
	v_lshlrev_b32_e32 v21, 2, v3
	v_add_nc_u32_e32 v18, v20, v14
	v_cmp_eq_u32_e64 s8, v4, v0
	s_and_b32 vcc_lo, exec_lo, s10
	v_cmp_gt_u32_e64 s10, 0x1fe, v0
	s_mov_b32 s11, -1
	s_waitcnt vmcnt(1)
	v_xor_b32_e32 v10, 0x7fffffff, v2
	v_not_b32_e32 v9, v1
	s_cbranch_vccnz .LBB45_15
; %bb.1:
	s_waitcnt vmcnt(0)
	v_dual_mov_b32 v16, 0 :: v_dual_mov_b32 v5, v22
	s_delay_alu instid0(VALU_DEP_2)
	v_dual_mov_b32 v1, v9 :: v_dual_mov_b32 v2, v10
	s_sub_i32 s11, s17, s16
	s_branch .LBB45_3
.LBB45_2:                               ;   in Loop: Header=BB45_3 Depth=1
	s_barrier
	buffer_gl0_inv
	ds_store_b64 v4, v[11:12]
	s_waitcnt lgkmcnt(0)
	s_barrier
	buffer_gl0_inv
	ds_load_b64 v[1:2], v18
	s_waitcnt lgkmcnt(0)
	s_barrier
	buffer_gl0_inv
	ds_store_b8 v3, v15
	s_waitcnt lgkmcnt(0)
	s_barrier
	buffer_gl0_inv
	ds_load_u8 v5, v0
	s_add_i32 s11, s11, -4
	s_waitcnt lgkmcnt(0)
	s_barrier
	buffer_gl0_inv
	s_cbranch_execz .LBB45_14
.LBB45_3:                               ; =>This Inner Loop Header: Depth=1
	s_delay_alu instid0(VALU_DEP_1)
	v_dual_mov_b32 v12, v2 :: v_dual_mov_b32 v11, v1
	v_mov_b32_e32 v15, v5
	ds_store_b32 v14, v16
	ds_store_b32 v14, v16 offset:2040
	ds_store_b32 v14, v16 offset:4080
	;; [unrolled: 1-line block ×5, first 2 shown]
	s_and_saveexec_b32 s18, s9
	s_cbranch_execz .LBB45_6
; %bb.4:                                ;   in Loop: Header=BB45_3 Depth=1
	ds_store_b32 v14, v16 offset:12240
	s_and_b32 exec_lo, exec_lo, s10
	s_cbranch_execz .LBB45_6
; %bb.5:                                ;   in Loop: Header=BB45_3 Depth=1
	ds_store_b32 v14, v16 offset:14280
.LBB45_6:                               ;   in Loop: Header=BB45_3 Depth=1
	s_or_b32 exec_lo, exec_lo, s18
	v_lshrrev_b64 v[1:2], s16, v[11:12]
	s_min_u32 s18, s11, 4
	s_delay_alu instid0(VALU_DEP_1) | instid1(SALU_CYCLE_1)
	v_bfe_u32 v1, v1, 0, s18
	s_delay_alu instid0(VALU_DEP_1) | instskip(SKIP_1) | instid1(VALU_DEP_2)
	v_and_b32_e32 v2, 7, v1
	v_lshrrev_b32_e32 v1, 3, v1
	v_mul_u32_u24_e32 v2, 0x1fe, v2
	s_delay_alu instid0(VALU_DEP_1) | instskip(NEXT) | instid1(VALU_DEP_1)
	v_add_lshl_u32 v2, v2, v0, 1
	v_add_lshl_u32 v23, v2, v1, 1
	ds_load_u16 v24, v23
	s_waitcnt lgkmcnt(0)
	v_add_nc_u16 v1, v24, 1
	ds_store_b16 v23, v1
	s_waitcnt lgkmcnt(0)
	s_barrier
	buffer_gl0_inv
	ds_load_2addr_b64 v[5:8], v17 offset1:1
	ds_load_2addr_b64 v[1:4], v17 offset0:2 offset1:3
	s_waitcnt lgkmcnt(1)
	v_add_nc_u32_e32 v25, v6, v5
	s_delay_alu instid0(VALU_DEP_1) | instskip(SKIP_1) | instid1(VALU_DEP_1)
	v_add3_u32 v25, v25, v7, v8
	s_waitcnt lgkmcnt(0)
	v_add3_u32 v25, v25, v1, v2
	s_delay_alu instid0(VALU_DEP_1) | instskip(NEXT) | instid1(VALU_DEP_1)
	v_add3_u32 v4, v25, v3, v4
	v_mov_b32_dpp v25, v4 row_shr:1 row_mask:0xf bank_mask:0xf
	s_delay_alu instid0(VALU_DEP_1) | instskip(NEXT) | instid1(VALU_DEP_1)
	v_cndmask_b32_e64 v25, v25, 0, s3
	v_add_nc_u32_e32 v4, v25, v4
	s_delay_alu instid0(VALU_DEP_1) | instskip(NEXT) | instid1(VALU_DEP_1)
	v_mov_b32_dpp v25, v4 row_shr:2 row_mask:0xf bank_mask:0xf
	v_cndmask_b32_e64 v25, 0, v25, s4
	s_delay_alu instid0(VALU_DEP_1) | instskip(NEXT) | instid1(VALU_DEP_1)
	v_add_nc_u32_e32 v4, v4, v25
	v_mov_b32_dpp v25, v4 row_shr:4 row_mask:0xf bank_mask:0xf
	s_delay_alu instid0(VALU_DEP_1) | instskip(NEXT) | instid1(VALU_DEP_1)
	v_cndmask_b32_e64 v25, 0, v25, s5
	v_add_nc_u32_e32 v4, v4, v25
	s_delay_alu instid0(VALU_DEP_1) | instskip(NEXT) | instid1(VALU_DEP_1)
	v_mov_b32_dpp v25, v4 row_shr:8 row_mask:0xf bank_mask:0xf
	v_cndmask_b32_e64 v25, 0, v25, s6
	s_delay_alu instid0(VALU_DEP_1) | instskip(SKIP_3) | instid1(VALU_DEP_1)
	v_add_nc_u32_e32 v4, v4, v25
	ds_swizzle_b32 v25, v4 offset:swizzle(BROADCAST,32,15)
	s_waitcnt lgkmcnt(0)
	v_cndmask_b32_e64 v25, v25, 0, s7
	v_add_nc_u32_e32 v4, v4, v25
	s_and_saveexec_b32 s18, s8
	s_cbranch_execz .LBB45_8
; %bb.7:                                ;   in Loop: Header=BB45_3 Depth=1
	ds_store_b32 v19, v4 offset:16320
.LBB45_8:                               ;   in Loop: Header=BB45_3 Depth=1
	s_or_b32 exec_lo, exec_lo, s18
	s_waitcnt lgkmcnt(0)
	s_barrier
	buffer_gl0_inv
	s_and_saveexec_b32 s18, s0
	s_cbranch_execz .LBB45_10
; %bb.9:                                ;   in Loop: Header=BB45_3 Depth=1
	ds_load_b32 v25, v20 offset:16320
	s_waitcnt lgkmcnt(0)
	v_mov_b32_dpp v26, v25 row_shr:1 row_mask:0xf bank_mask:0xf
	s_delay_alu instid0(VALU_DEP_1) | instskip(NEXT) | instid1(VALU_DEP_1)
	v_cndmask_b32_e64 v26, v26, 0, s3
	v_add_nc_u32_e32 v25, v26, v25
	s_delay_alu instid0(VALU_DEP_1) | instskip(NEXT) | instid1(VALU_DEP_1)
	v_mov_b32_dpp v26, v25 row_shr:2 row_mask:0xf bank_mask:0xf
	v_cndmask_b32_e64 v26, 0, v26, s4
	s_delay_alu instid0(VALU_DEP_1) | instskip(NEXT) | instid1(VALU_DEP_1)
	v_add_nc_u32_e32 v25, v25, v26
	v_mov_b32_dpp v26, v25 row_shr:4 row_mask:0xf bank_mask:0xf
	s_delay_alu instid0(VALU_DEP_1) | instskip(NEXT) | instid1(VALU_DEP_1)
	v_cndmask_b32_e64 v26, 0, v26, s5
	v_add_nc_u32_e32 v25, v25, v26
	s_delay_alu instid0(VALU_DEP_1) | instskip(NEXT) | instid1(VALU_DEP_1)
	v_mov_b32_dpp v26, v25 row_shr:8 row_mask:0xf bank_mask:0xf
	v_cndmask_b32_e64 v26, 0, v26, s6
	s_delay_alu instid0(VALU_DEP_1)
	v_add_nc_u32_e32 v25, v25, v26
	ds_store_b32 v20, v25 offset:16320
.LBB45_10:                              ;   in Loop: Header=BB45_3 Depth=1
	s_or_b32 exec_lo, exec_lo, s18
	v_mov_b32_e32 v25, 0
	s_waitcnt lgkmcnt(0)
	s_barrier
	buffer_gl0_inv
	s_and_saveexec_b32 s18, s1
	s_cbranch_execz .LBB45_12
; %bb.11:                               ;   in Loop: Header=BB45_3 Depth=1
	ds_load_b32 v25, v19 offset:16316
.LBB45_12:                              ;   in Loop: Header=BB45_3 Depth=1
	s_or_b32 exec_lo, exec_lo, s18
	s_waitcnt lgkmcnt(0)
	v_add_nc_u32_e32 v4, v25, v4
	ds_load_b32 v26, v16 offset:16380
	s_add_i32 s16, s16, 4
	s_delay_alu instid0(SALU_CYCLE_1) | instskip(SKIP_3) | instid1(VALU_DEP_1)
	s_cmp_ge_u32 s16, s17
	ds_bpermute_b32 v4, v21, v4
	s_waitcnt lgkmcnt(0)
	v_cndmask_b32_e64 v4, v4, v25, s2
	v_lshl_add_u32 v4, v26, 16, v4
	s_delay_alu instid0(VALU_DEP_1) | instskip(NEXT) | instid1(VALU_DEP_1)
	v_add_nc_u32_e32 v5, v4, v5
	v_add_nc_u32_e32 v6, v5, v6
	s_delay_alu instid0(VALU_DEP_1) | instskip(NEXT) | instid1(VALU_DEP_1)
	v_add_nc_u32_e32 v7, v6, v7
	v_add_nc_u32_e32 v25, v7, v8
	;; [unrolled: 3-line block ×3, first 2 shown]
	s_delay_alu instid0(VALU_DEP_1)
	v_add_nc_u32_e32 v2, v1, v3
	ds_store_2addr_b64 v17, v[4:5], v[6:7] offset1:1
	ds_store_2addr_b64 v17, v[25:26], v[1:2] offset0:2 offset1:3
	s_waitcnt lgkmcnt(0)
	s_barrier
	buffer_gl0_inv
	ds_load_u16 v1, v23
	v_and_b32_e32 v2, 0xffff, v24
	s_waitcnt lgkmcnt(0)
	s_delay_alu instid0(VALU_DEP_1) | instskip(NEXT) | instid1(VALU_DEP_1)
	v_add_nc_u32_e32 v3, v1, v2
	v_lshlrev_b32_e32 v4, 3, v3
	s_cbranch_scc0 .LBB45_2
; %bb.13:
                                        ; implicit-def: $vgpr1_vgpr2
                                        ; implicit-def: $vgpr5
                                        ; implicit-def: $sgpr11
.LBB45_14:
	s_barrier
	buffer_gl0_inv
	ds_store_b64 v4, v[11:12]
	s_waitcnt lgkmcnt(0)
	s_barrier
	buffer_gl0_inv
	ds_load_b64 v[1:2], v18
	s_waitcnt lgkmcnt(0)
	s_barrier
	buffer_gl0_inv
	ds_store_b8 v3, v15
	s_waitcnt lgkmcnt(0)
	s_mov_b32 s11, 0
	s_barrier
	s_branch .LBB45_16
.LBB45_15:
                                        ; implicit-def: $vgpr1_vgpr2
.LBB45_16:
	v_add_co_u32 v11, s9, s12, v13
	s_delay_alu instid0(VALU_DEP_1) | instskip(SKIP_1) | instid1(VALU_DEP_1)
	v_add_co_ci_u32_e64 v12, null, s13, 0, s9
	v_add_co_u32 v13, s9, s14, v0
	v_add_co_ci_u32_e64 v14, null, s15, 0, s9
	s_and_b32 vcc_lo, exec_lo, s11
	s_cbranch_vccz .LBB45_31
; %bb.17:
	v_mul_u32_u24_e32 v1, 3, v0
	v_cmp_gt_u32_e64 s9, 0x3fc, v0
	v_cmp_gt_u32_e64 s10, 0x1fe, v0
	s_mov_b64 s[12:13], 0
	s_delay_alu instid0(VALU_DEP_3)
	v_dual_mov_b32 v25, 0 :: v_dual_add_nc_u32 v24, v0, v1
	s_branch .LBB45_19
.LBB45_18:                              ;   in Loop: Header=BB45_19 Depth=1
	s_delay_alu instid0(VALU_DEP_1)
	v_lshlrev_b32_e32 v1, 3, v3
	s_barrier
	buffer_gl0_inv
	s_add_u32 s12, s12, 4
	ds_store_b64 v1, v[15:16]
	s_waitcnt lgkmcnt(0)
	s_barrier
	buffer_gl0_inv
	ds_load_b64 v[9:10], v18
	s_waitcnt lgkmcnt(0)
	s_barrier
	buffer_gl0_inv
	ds_store_b8 v3, v23
	s_waitcnt lgkmcnt(0)
	s_barrier
	buffer_gl0_inv
	ds_load_u8 v22, v0
	s_addc_u32 s13, s13, 0
	s_waitcnt lgkmcnt(0)
	s_barrier
	buffer_gl0_inv
	s_cbranch_execz .LBB45_30
.LBB45_19:                              ; =>This Inner Loop Header: Depth=1
	v_dual_mov_b32 v16, v10 :: v_dual_mov_b32 v15, v9
	s_waitcnt vmcnt(0)
	v_mov_b32_e32 v23, v22
	ds_store_b32 v24, v25
	ds_store_b32 v24, v25 offset:2040
	ds_store_b32 v24, v25 offset:4080
	;; [unrolled: 1-line block ×5, first 2 shown]
	s_and_saveexec_b32 s11, s9
	s_cbranch_execz .LBB45_22
; %bb.20:                               ;   in Loop: Header=BB45_19 Depth=1
	ds_store_b32 v24, v25 offset:12240
	s_and_b32 exec_lo, exec_lo, s10
	s_cbranch_execz .LBB45_22
; %bb.21:                               ;   in Loop: Header=BB45_19 Depth=1
	ds_store_b32 v24, v25 offset:14280
.LBB45_22:                              ;   in Loop: Header=BB45_19 Depth=1
	s_or_b32 exec_lo, exec_lo, s11
	v_lshrrev_b64 v[1:2], s12, v[15:16]
	s_delay_alu instid0(VALU_DEP_1) | instskip(SKIP_1) | instid1(VALU_DEP_2)
	v_and_b32_e32 v2, 7, v1
	v_lshrrev_b32_e32 v1, 2, v1
	v_mad_u32_u24 v2, 0x1fe, v2, v0
	s_delay_alu instid0(VALU_DEP_2) | instskip(NEXT) | instid1(VALU_DEP_1)
	v_and_b32_e32 v1, 2, v1
	v_lshl_or_b32 v9, v2, 2, v1
	ds_load_u16 v10, v9
	s_waitcnt lgkmcnt(0)
	v_add_nc_u16 v1, v10, 1
	ds_store_b16 v9, v1
	s_waitcnt lgkmcnt(0)
	s_barrier
	buffer_gl0_inv
	ds_load_2addr_b64 v[5:8], v17 offset1:1
	ds_load_2addr_b64 v[1:4], v17 offset0:2 offset1:3
	s_waitcnt lgkmcnt(1)
	v_add_nc_u32_e32 v22, v6, v5
	s_delay_alu instid0(VALU_DEP_1) | instskip(SKIP_1) | instid1(VALU_DEP_1)
	v_add3_u32 v22, v22, v7, v8
	s_waitcnt lgkmcnt(0)
	v_add3_u32 v22, v22, v1, v2
	s_delay_alu instid0(VALU_DEP_1) | instskip(NEXT) | instid1(VALU_DEP_1)
	v_add3_u32 v4, v22, v3, v4
	v_mov_b32_dpp v22, v4 row_shr:1 row_mask:0xf bank_mask:0xf
	s_delay_alu instid0(VALU_DEP_1) | instskip(NEXT) | instid1(VALU_DEP_1)
	v_cndmask_b32_e64 v22, v22, 0, s3
	v_add_nc_u32_e32 v4, v22, v4
	s_delay_alu instid0(VALU_DEP_1) | instskip(NEXT) | instid1(VALU_DEP_1)
	v_mov_b32_dpp v22, v4 row_shr:2 row_mask:0xf bank_mask:0xf
	v_cndmask_b32_e64 v22, 0, v22, s4
	s_delay_alu instid0(VALU_DEP_1) | instskip(NEXT) | instid1(VALU_DEP_1)
	v_add_nc_u32_e32 v4, v4, v22
	v_mov_b32_dpp v22, v4 row_shr:4 row_mask:0xf bank_mask:0xf
	s_delay_alu instid0(VALU_DEP_1) | instskip(NEXT) | instid1(VALU_DEP_1)
	v_cndmask_b32_e64 v22, 0, v22, s5
	v_add_nc_u32_e32 v4, v4, v22
	s_delay_alu instid0(VALU_DEP_1) | instskip(NEXT) | instid1(VALU_DEP_1)
	v_mov_b32_dpp v22, v4 row_shr:8 row_mask:0xf bank_mask:0xf
	v_cndmask_b32_e64 v22, 0, v22, s6
	s_delay_alu instid0(VALU_DEP_1) | instskip(SKIP_3) | instid1(VALU_DEP_1)
	v_add_nc_u32_e32 v4, v4, v22
	ds_swizzle_b32 v22, v4 offset:swizzle(BROADCAST,32,15)
	s_waitcnt lgkmcnt(0)
	v_cndmask_b32_e64 v22, v22, 0, s7
	v_add_nc_u32_e32 v4, v4, v22
	s_and_saveexec_b32 s11, s8
	s_cbranch_execz .LBB45_24
; %bb.23:                               ;   in Loop: Header=BB45_19 Depth=1
	ds_store_b32 v19, v4 offset:16320
.LBB45_24:                              ;   in Loop: Header=BB45_19 Depth=1
	s_or_b32 exec_lo, exec_lo, s11
	s_waitcnt lgkmcnt(0)
	s_barrier
	buffer_gl0_inv
	s_and_saveexec_b32 s11, s0
	s_cbranch_execz .LBB45_26
; %bb.25:                               ;   in Loop: Header=BB45_19 Depth=1
	ds_load_b32 v22, v20 offset:16320
	s_waitcnt lgkmcnt(0)
	v_mov_b32_dpp v26, v22 row_shr:1 row_mask:0xf bank_mask:0xf
	s_delay_alu instid0(VALU_DEP_1) | instskip(NEXT) | instid1(VALU_DEP_1)
	v_cndmask_b32_e64 v26, v26, 0, s3
	v_add_nc_u32_e32 v22, v26, v22
	s_delay_alu instid0(VALU_DEP_1) | instskip(NEXT) | instid1(VALU_DEP_1)
	v_mov_b32_dpp v26, v22 row_shr:2 row_mask:0xf bank_mask:0xf
	v_cndmask_b32_e64 v26, 0, v26, s4
	s_delay_alu instid0(VALU_DEP_1) | instskip(NEXT) | instid1(VALU_DEP_1)
	v_add_nc_u32_e32 v22, v22, v26
	v_mov_b32_dpp v26, v22 row_shr:4 row_mask:0xf bank_mask:0xf
	s_delay_alu instid0(VALU_DEP_1) | instskip(NEXT) | instid1(VALU_DEP_1)
	v_cndmask_b32_e64 v26, 0, v26, s5
	v_add_nc_u32_e32 v22, v22, v26
	s_delay_alu instid0(VALU_DEP_1) | instskip(NEXT) | instid1(VALU_DEP_1)
	v_mov_b32_dpp v26, v22 row_shr:8 row_mask:0xf bank_mask:0xf
	v_cndmask_b32_e64 v26, 0, v26, s6
	s_delay_alu instid0(VALU_DEP_1)
	v_add_nc_u32_e32 v22, v22, v26
	ds_store_b32 v20, v22 offset:16320
.LBB45_26:                              ;   in Loop: Header=BB45_19 Depth=1
	s_or_b32 exec_lo, exec_lo, s11
	v_mov_b32_e32 v22, 0
	s_waitcnt lgkmcnt(0)
	s_barrier
	buffer_gl0_inv
	s_and_saveexec_b32 s11, s1
	s_cbranch_execz .LBB45_28
; %bb.27:                               ;   in Loop: Header=BB45_19 Depth=1
	ds_load_b32 v22, v19 offset:16316
.LBB45_28:                              ;   in Loop: Header=BB45_19 Depth=1
	s_or_b32 exec_lo, exec_lo, s11
	s_waitcnt lgkmcnt(0)
	v_add_nc_u32_e32 v4, v22, v4
	ds_load_b32 v26, v25 offset:16380
	s_cmp_gt_u32 s12, 59
	ds_bpermute_b32 v4, v21, v4
	s_waitcnt lgkmcnt(0)
	v_cndmask_b32_e64 v4, v4, v22, s2
	s_delay_alu instid0(VALU_DEP_1) | instskip(NEXT) | instid1(VALU_DEP_1)
	v_lshl_add_u32 v4, v26, 16, v4
	v_add_nc_u32_e32 v5, v4, v5
	s_delay_alu instid0(VALU_DEP_1) | instskip(NEXT) | instid1(VALU_DEP_1)
	v_add_nc_u32_e32 v6, v5, v6
	v_add_nc_u32_e32 v7, v6, v7
	s_delay_alu instid0(VALU_DEP_1) | instskip(NEXT) | instid1(VALU_DEP_1)
	v_add_nc_u32_e32 v26, v7, v8
	;; [unrolled: 3-line block ×3, first 2 shown]
	v_add_nc_u32_e32 v2, v1, v3
	ds_store_2addr_b64 v17, v[4:5], v[6:7] offset1:1
	ds_store_2addr_b64 v17, v[26:27], v[1:2] offset0:2 offset1:3
	s_waitcnt lgkmcnt(0)
	s_barrier
	buffer_gl0_inv
	ds_load_u16 v1, v9
	v_and_b32_e32 v2, 0xffff, v10
	s_waitcnt lgkmcnt(0)
	s_delay_alu instid0(VALU_DEP_1)
	v_add_nc_u32_e32 v3, v1, v2
	s_cbranch_scc0 .LBB45_18
; %bb.29:
                                        ; implicit-def: $vgpr9_vgpr10
                                        ; implicit-def: $vgpr22
                                        ; implicit-def: $sgpr12_sgpr13
.LBB45_30:
	s_delay_alu instid0(VALU_DEP_1)
	v_lshlrev_b32_e32 v1, 3, v3
	s_barrier
	buffer_gl0_inv
	ds_store_b64 v1, v[15:16]
	s_waitcnt lgkmcnt(0)
	s_barrier
	buffer_gl0_inv
	ds_load_b64 v[1:2], v18
	s_waitcnt lgkmcnt(0)
	s_barrier
	buffer_gl0_inv
	ds_store_b8 v3, v23
	s_waitcnt lgkmcnt(0)
	s_barrier
.LBB45_31:
	s_waitcnt vmcnt(0)
	buffer_gl0_inv
	ds_load_u8 v0, v0
	v_xor_b32_e32 v2, 0x7fffffff, v2
	v_not_b32_e32 v1, v1
	global_store_b64 v[11:12], v[1:2], off
	s_waitcnt lgkmcnt(0)
	global_store_b8 v[13:14], v0, off
	s_nop 0
	s_sendmsg sendmsg(MSG_DEALLOC_VGPRS)
	s_endpgm
	.section	.rodata,"a",@progbits
	.p2align	6, 0x0
	.amdhsa_kernel _Z21sort_key_value_kernelILj510ELj1ELb0ELb1ExcEvPT3_PT4_jj
		.amdhsa_group_segment_fixed_size 16384
		.amdhsa_private_segment_fixed_size 0
		.amdhsa_kernarg_size 24
		.amdhsa_user_sgpr_count 15
		.amdhsa_user_sgpr_dispatch_ptr 0
		.amdhsa_user_sgpr_queue_ptr 0
		.amdhsa_user_sgpr_kernarg_segment_ptr 1
		.amdhsa_user_sgpr_dispatch_id 0
		.amdhsa_user_sgpr_private_segment_size 0
		.amdhsa_wavefront_size32 1
		.amdhsa_uses_dynamic_stack 0
		.amdhsa_enable_private_segment 0
		.amdhsa_system_sgpr_workgroup_id_x 1
		.amdhsa_system_sgpr_workgroup_id_y 0
		.amdhsa_system_sgpr_workgroup_id_z 0
		.amdhsa_system_sgpr_workgroup_info 0
		.amdhsa_system_vgpr_workitem_id 0
		.amdhsa_next_free_vgpr 28
		.amdhsa_next_free_sgpr 19
		.amdhsa_reserve_vcc 1
		.amdhsa_float_round_mode_32 0
		.amdhsa_float_round_mode_16_64 0
		.amdhsa_float_denorm_mode_32 3
		.amdhsa_float_denorm_mode_16_64 3
		.amdhsa_dx10_clamp 1
		.amdhsa_ieee_mode 1
		.amdhsa_fp16_overflow 0
		.amdhsa_workgroup_processor_mode 1
		.amdhsa_memory_ordered 1
		.amdhsa_forward_progress 0
		.amdhsa_shared_vgpr_count 0
		.amdhsa_exception_fp_ieee_invalid_op 0
		.amdhsa_exception_fp_denorm_src 0
		.amdhsa_exception_fp_ieee_div_zero 0
		.amdhsa_exception_fp_ieee_overflow 0
		.amdhsa_exception_fp_ieee_underflow 0
		.amdhsa_exception_fp_ieee_inexact 0
		.amdhsa_exception_int_div_zero 0
	.end_amdhsa_kernel
	.section	.text._Z21sort_key_value_kernelILj510ELj1ELb0ELb1ExcEvPT3_PT4_jj,"axG",@progbits,_Z21sort_key_value_kernelILj510ELj1ELb0ELb1ExcEvPT3_PT4_jj,comdat
.Lfunc_end45:
	.size	_Z21sort_key_value_kernelILj510ELj1ELb0ELb1ExcEvPT3_PT4_jj, .Lfunc_end45-_Z21sort_key_value_kernelILj510ELj1ELb0ELb1ExcEvPT3_PT4_jj
                                        ; -- End function
	.section	.AMDGPU.csdata,"",@progbits
; Kernel info:
; codeLenInByte = 2428
; NumSgprs: 21
; NumVgprs: 28
; ScratchSize: 0
; MemoryBound: 0
; FloatMode: 240
; IeeeMode: 1
; LDSByteSize: 16384 bytes/workgroup (compile time only)
; SGPRBlocks: 2
; VGPRBlocks: 3
; NumSGPRsForWavesPerEU: 21
; NumVGPRsForWavesPerEU: 28
; Occupancy: 16
; WaveLimiterHint : 0
; COMPUTE_PGM_RSRC2:SCRATCH_EN: 0
; COMPUTE_PGM_RSRC2:USER_SGPR: 15
; COMPUTE_PGM_RSRC2:TRAP_HANDLER: 0
; COMPUTE_PGM_RSRC2:TGID_X_EN: 1
; COMPUTE_PGM_RSRC2:TGID_Y_EN: 0
; COMPUTE_PGM_RSRC2:TGID_Z_EN: 0
; COMPUTE_PGM_RSRC2:TIDIG_COMP_CNT: 0
	.section	.text._Z21sort_key_value_kernelILj37ELj1ELb0ELb0E6__halfiEvPT3_PT4_jj,"axG",@progbits,_Z21sort_key_value_kernelILj37ELj1ELb0ELb0E6__halfiEvPT3_PT4_jj,comdat
	.protected	_Z21sort_key_value_kernelILj37ELj1ELb0ELb0E6__halfiEvPT3_PT4_jj ; -- Begin function _Z21sort_key_value_kernelILj37ELj1ELb0ELb0E6__halfiEvPT3_PT4_jj
	.globl	_Z21sort_key_value_kernelILj37ELj1ELb0ELb0E6__halfiEvPT3_PT4_jj
	.p2align	8
	.type	_Z21sort_key_value_kernelILj37ELj1ELb0ELb0E6__halfiEvPT3_PT4_jj,@function
_Z21sort_key_value_kernelILj37ELj1ELb0ELb0E6__halfiEvPT3_PT4_jj: ; @_Z21sort_key_value_kernelILj37ELj1ELb0ELb0E6__halfiEvPT3_PT4_jj
; %bb.0:
	s_clause 0x1
	s_load_b128 s[4:7], s[0:1], 0x0
	s_load_b64 s[22:23], s[0:1], 0x10
	v_mbcnt_lo_u32_b32 v2, -1, 0
	s_mov_b32 s3, 0
	s_mul_i32 s2, s15, 37
	v_lshlrev_b32_e32 v19, 2, v0
	s_lshl_b64 s[8:9], s[2:3], 1
	v_add_nc_u32_e32 v6, -1, v2
	v_and_b32_e32 v3, 15, v2
	v_and_b32_e32 v4, 16, v2
	;; [unrolled: 1-line block ×3, first 2 shown]
	v_lshlrev_b32_e32 v13, 5, v0
	v_cmp_gt_i32_e32 vcc_lo, 0, v6
	v_lshlrev_b32_e32 v9, 1, v0
	v_and_b32_e32 v5, 32, v0
	v_lshrrev_b32_e32 v7, 3, v0
	v_mad_i32_i24 v18, 0xffffffe4, v0, v13
	v_cmp_gt_u32_e64 s10, 0x128, v0
	s_delay_alu instid0(VALU_DEP_3)
	v_and_b32_e32 v17, 4, v7
	s_waitcnt lgkmcnt(0)
	s_add_u32 s18, s4, s8
	s_addc_u32 s19, s5, s9
	s_lshl_b64 s[0:1], s[2:3], 2
	v_cmp_eq_u32_e64 s8, 0, v3
	s_add_u32 s20, s6, s0
	v_cmp_eq_u32_e64 s0, 0, v2
	v_cndmask_b32_e32 v2, v6, v2, vcc_lo
	global_load_u16 v1, v9, s[18:19]
	s_addc_u32 s21, s7, s1
	v_cmp_lt_u32_e64 s7, 1, v3
	global_load_b32 v20, v19, s[20:21]
	v_cmp_lt_u32_e64 s6, 3, v3
	v_cmp_lt_u32_e64 s5, 7, v3
	v_min_u32_e32 v3, 5, v5
	s_cmp_eq_u32 s22, 0
	v_lshlrev_b32_e32 v16, 2, v2
	s_cselect_b32 s11, -1, 0
	s_cmp_eq_u32 s23, 16
	v_add_nc_u32_e32 v3, 31, v3
	v_sub_nc_u32_e32 v15, v18, v9
	s_cselect_b32 s12, -1, 0
	v_cmp_gt_u32_e64 s2, 2, v0
	s_and_b32 s11, s11, s12
	v_cmp_lt_u32_e64 s1, 31, v0
	v_cmp_eq_u32_e64 s4, 0, v4
	v_cmp_eq_u32_e64 s3, 0, v8
	;; [unrolled: 1-line block ×3, first 2 shown]
	v_add_nc_u32_e32 v14, v15, v9
	s_mov_b32 s12, -1
	s_waitcnt vmcnt(1)
	v_cmp_lt_i16_e32 vcc_lo, -1, v1
	v_cndmask_b32_e64 v2, -1, 0xffff8000, vcc_lo
	s_and_b32 vcc_lo, exec_lo, s11
	v_cmp_gt_u32_e64 s11, 0x103, v0
	s_delay_alu instid0(VALU_DEP_2)
	v_xor_b32_e32 v21, v2, v1
	s_cbranch_vccnz .LBB46_21
; %bb.1:
	v_cmp_gt_u32_e64 s12, 0xde, v0
	v_cmp_gt_u32_e64 s13, 0xb9, v0
	;; [unrolled: 1-line block ×6, first 2 shown]
	v_dual_mov_b32 v11, 0 :: v_dual_mov_b32 v2, v21
	s_waitcnt vmcnt(0)
	v_mov_b32_e32 v3, v20
	s_sub_i32 s24, s23, s22
	s_branch .LBB46_3
.LBB46_2:                               ;   in Loop: Header=BB46_3 Depth=1
	s_delay_alu instid0(VALU_DEP_1)
	v_add_nc_u32_e32 v3, v1, v1
	s_barrier
	buffer_gl0_inv
	ds_store_b16 v1, v12
	s_waitcnt lgkmcnt(0)
	s_barrier
	buffer_gl0_inv
	ds_load_u16 v2, v15
	s_waitcnt lgkmcnt(0)
	s_barrier
	buffer_gl0_inv
	ds_store_b32 v3, v10
	s_waitcnt lgkmcnt(0)
	s_barrier
	buffer_gl0_inv
	ds_load_b32 v3, v14
	s_add_i32 s24, s24, -4
	s_waitcnt lgkmcnt(0)
	s_barrier
	buffer_gl0_inv
	s_cbranch_execz .LBB46_20
.LBB46_3:                               ; =>This Inner Loop Header: Depth=1
	v_mov_b32_e32 v12, v2
	s_delay_alu instid0(VALU_DEP_2)
	v_mov_b32_e32 v10, v3
	s_and_saveexec_b32 s25, s10
	s_cbranch_execz .LBB46_12
; %bb.4:                                ;   in Loop: Header=BB46_3 Depth=1
	ds_store_b32 v19, v11
	s_and_b32 exec_lo, exec_lo, s11
	s_cbranch_execz .LBB46_12
; %bb.5:                                ;   in Loop: Header=BB46_3 Depth=1
	ds_store_b32 v19, v11 offset:148
	s_and_b32 exec_lo, exec_lo, s12
	s_cbranch_execz .LBB46_12
; %bb.6:                                ;   in Loop: Header=BB46_3 Depth=1
	ds_store_b32 v19, v11 offset:296
	;; [unrolled: 4-line block ×5, first 2 shown]
	s_and_b32 exec_lo, exec_lo, s16
	s_cbranch_execz .LBB46_12
; %bb.10:                               ;   in Loop: Header=BB46_3 Depth=1
	ds_store_b32 v19, v11 offset:888
	s_and_b32 exec_lo, exec_lo, s17
	s_cbranch_execz .LBB46_12
; %bb.11:                               ;   in Loop: Header=BB46_3 Depth=1
	ds_store_b32 v19, v11 offset:1036
.LBB46_12:                              ;   in Loop: Header=BB46_3 Depth=1
	s_or_b32 exec_lo, exec_lo, s25
	v_cmp_ne_u16_e32 vcc_lo, 0x7fff, v12
	s_min_u32 s25, s24, 4
	v_cndmask_b32_e32 v1, 0xffff8000, v12, vcc_lo
	s_delay_alu instid0(VALU_DEP_1) | instskip(NEXT) | instid1(VALU_DEP_1)
	v_and_b32_e32 v1, 0xffff, v1
	v_lshrrev_b32_e32 v1, s22, v1
	s_delay_alu instid0(VALU_DEP_1) | instskip(NEXT) | instid1(VALU_DEP_1)
	v_bfe_u32 v1, v1, 0, s25
	v_and_b32_e32 v2, 7, v1
	v_lshrrev_b32_e32 v1, 3, v1
	s_delay_alu instid0(VALU_DEP_2) | instskip(NEXT) | instid1(VALU_DEP_1)
	v_mul_u32_u24_e32 v2, 37, v2
	v_add_lshl_u32 v2, v2, v0, 1
	s_delay_alu instid0(VALU_DEP_1)
	v_add_lshl_u32 v22, v2, v1, 1
	ds_load_u16 v23, v22
	s_waitcnt lgkmcnt(0)
	v_add_nc_u16 v1, v23, 1
	ds_store_b16 v22, v1
	s_waitcnt lgkmcnt(0)
	s_barrier
	buffer_gl0_inv
	ds_load_2addr_b64 v[5:8], v13 offset1:1
	ds_load_2addr_b64 v[1:4], v13 offset0:2 offset1:3
	s_waitcnt lgkmcnt(1)
	v_add_nc_u32_e32 v24, v6, v5
	s_delay_alu instid0(VALU_DEP_1) | instskip(SKIP_1) | instid1(VALU_DEP_1)
	v_add3_u32 v24, v24, v7, v8
	s_waitcnt lgkmcnt(0)
	v_add3_u32 v24, v24, v1, v2
	s_delay_alu instid0(VALU_DEP_1) | instskip(NEXT) | instid1(VALU_DEP_1)
	v_add3_u32 v4, v24, v3, v4
	v_mov_b32_dpp v24, v4 row_shr:1 row_mask:0xf bank_mask:0xf
	s_delay_alu instid0(VALU_DEP_1) | instskip(NEXT) | instid1(VALU_DEP_1)
	v_cndmask_b32_e64 v24, v24, 0, s8
	v_add_nc_u32_e32 v4, v24, v4
	s_delay_alu instid0(VALU_DEP_1) | instskip(NEXT) | instid1(VALU_DEP_1)
	v_mov_b32_dpp v24, v4 row_shr:2 row_mask:0xf bank_mask:0xf
	v_cndmask_b32_e64 v24, 0, v24, s7
	s_delay_alu instid0(VALU_DEP_1) | instskip(NEXT) | instid1(VALU_DEP_1)
	v_add_nc_u32_e32 v4, v4, v24
	v_mov_b32_dpp v24, v4 row_shr:4 row_mask:0xf bank_mask:0xf
	s_delay_alu instid0(VALU_DEP_1) | instskip(NEXT) | instid1(VALU_DEP_1)
	v_cndmask_b32_e64 v24, 0, v24, s6
	v_add_nc_u32_e32 v4, v4, v24
	s_delay_alu instid0(VALU_DEP_1) | instskip(NEXT) | instid1(VALU_DEP_1)
	v_mov_b32_dpp v24, v4 row_shr:8 row_mask:0xf bank_mask:0xf
	v_cndmask_b32_e64 v24, 0, v24, s5
	s_delay_alu instid0(VALU_DEP_1) | instskip(SKIP_3) | instid1(VALU_DEP_1)
	v_add_nc_u32_e32 v4, v4, v24
	ds_swizzle_b32 v24, v4 offset:swizzle(BROADCAST,32,15)
	s_waitcnt lgkmcnt(0)
	v_cndmask_b32_e64 v24, v24, 0, s4
	v_add_nc_u32_e32 v4, v4, v24
	s_and_saveexec_b32 s25, s9
	s_cbranch_execz .LBB46_14
; %bb.13:                               ;   in Loop: Header=BB46_3 Depth=1
	ds_store_b32 v17, v4 offset:1184
.LBB46_14:                              ;   in Loop: Header=BB46_3 Depth=1
	s_or_b32 exec_lo, exec_lo, s25
	s_waitcnt lgkmcnt(0)
	s_barrier
	buffer_gl0_inv
	s_and_saveexec_b32 s25, s2
	s_cbranch_execz .LBB46_16
; %bb.15:                               ;   in Loop: Header=BB46_3 Depth=1
	ds_load_b32 v24, v18 offset:1184
	s_waitcnt lgkmcnt(0)
	v_mov_b32_dpp v25, v24 row_shr:1 row_mask:0xf bank_mask:0xf
	s_delay_alu instid0(VALU_DEP_1) | instskip(NEXT) | instid1(VALU_DEP_1)
	v_cndmask_b32_e64 v25, v25, 0, s3
	v_add_nc_u32_e32 v24, v25, v24
	ds_store_b32 v18, v24 offset:1184
.LBB46_16:                              ;   in Loop: Header=BB46_3 Depth=1
	s_or_b32 exec_lo, exec_lo, s25
	v_mov_b32_e32 v24, 0
	s_waitcnt lgkmcnt(0)
	s_barrier
	buffer_gl0_inv
	s_and_saveexec_b32 s25, s1
	s_cbranch_execz .LBB46_18
; %bb.17:                               ;   in Loop: Header=BB46_3 Depth=1
	ds_load_b32 v24, v17 offset:1180
.LBB46_18:                              ;   in Loop: Header=BB46_3 Depth=1
	s_or_b32 exec_lo, exec_lo, s25
	s_waitcnt lgkmcnt(0)
	v_add_nc_u32_e32 v4, v24, v4
	ds_load_b32 v25, v11 offset:1188
	s_add_i32 s22, s22, 4
	s_delay_alu instid0(SALU_CYCLE_1) | instskip(SKIP_3) | instid1(VALU_DEP_1)
	s_cmp_ge_u32 s22, s23
	ds_bpermute_b32 v4, v16, v4
	s_waitcnt lgkmcnt(0)
	v_cndmask_b32_e64 v4, v4, v24, s0
	v_lshl_add_u32 v4, v25, 16, v4
	s_delay_alu instid0(VALU_DEP_1) | instskip(NEXT) | instid1(VALU_DEP_1)
	v_add_nc_u32_e32 v5, v4, v5
	v_add_nc_u32_e32 v6, v5, v6
	s_delay_alu instid0(VALU_DEP_1) | instskip(NEXT) | instid1(VALU_DEP_1)
	v_add_nc_u32_e32 v7, v6, v7
	v_add_nc_u32_e32 v24, v7, v8
	;; [unrolled: 3-line block ×3, first 2 shown]
	s_delay_alu instid0(VALU_DEP_1)
	v_add_nc_u32_e32 v2, v1, v3
	ds_store_2addr_b64 v13, v[4:5], v[6:7] offset1:1
	ds_store_2addr_b64 v13, v[24:25], v[1:2] offset0:2 offset1:3
	s_waitcnt lgkmcnt(0)
	s_barrier
	buffer_gl0_inv
	ds_load_u16 v1, v22
	v_and_b32_e32 v2, 0xffff, v23
	s_waitcnt lgkmcnt(0)
	s_delay_alu instid0(VALU_DEP_1)
	v_add_lshl_u32 v1, v1, v2, 1
	s_cbranch_scc0 .LBB46_2
; %bb.19:
                                        ; implicit-def: $vgpr2
                                        ; implicit-def: $vgpr3
                                        ; implicit-def: $sgpr24
.LBB46_20:
	s_barrier
	buffer_gl0_inv
	ds_store_b16 v1, v12
	s_waitcnt lgkmcnt(0)
	s_barrier
	buffer_gl0_inv
	ds_load_u16 v2, v15
	v_add_nc_u32_e32 v1, v1, v1
	s_mov_b32 s12, 0
	s_waitcnt lgkmcnt(0)
	s_barrier
	buffer_gl0_inv
	ds_store_b32 v1, v10
	s_waitcnt lgkmcnt(0)
	s_barrier
	s_branch .LBB46_22
.LBB46_21:
                                        ; implicit-def: $vgpr2
.LBB46_22:
	v_add_co_u32 v9, s11, s18, v9
	s_delay_alu instid0(VALU_DEP_1) | instskip(SKIP_1) | instid1(VALU_DEP_1)
	v_add_co_ci_u32_e64 v10, null, s19, 0, s11
	v_add_co_u32 v11, s11, s20, v19
	v_add_co_ci_u32_e64 v12, null, s21, 0, s11
	s_and_b32 vcc_lo, exec_lo, s12
	s_cbranch_vccz .LBB46_84
; %bb.23:
	s_and_saveexec_b32 s11, s10
	s_cbranch_execz .LBB46_32
; %bb.24:
	v_mov_b32_e32 v1, 0
	v_cmp_gt_u32_e32 vcc_lo, 0x103, v0
	ds_store_b32 v14, v1
	s_and_b32 exec_lo, exec_lo, vcc_lo
	s_cbranch_execz .LBB46_32
; %bb.25:
	v_cmp_gt_u32_e32 vcc_lo, 0xde, v0
	ds_store_b32 v14, v1 offset:148
	s_and_b32 exec_lo, exec_lo, vcc_lo
	s_cbranch_execz .LBB46_32
; %bb.26:
	v_mov_b32_e32 v1, 0
	v_cmp_gt_u32_e32 vcc_lo, 0xb9, v0
	ds_store_b32 v14, v1 offset:296
	s_and_b32 exec_lo, exec_lo, vcc_lo
	s_cbranch_execz .LBB46_32
; %bb.27:
	v_cmp_gt_u32_e32 vcc_lo, 0x94, v0
	ds_store_b32 v14, v1 offset:444
	s_and_b32 exec_lo, exec_lo, vcc_lo
	s_cbranch_execz .LBB46_32
; %bb.28:
	v_mov_b32_e32 v1, 0
	v_cmp_gt_u32_e32 vcc_lo, 0x6f, v0
	ds_store_b32 v14, v1 offset:592
	;; [unrolled: 11-line block ×3, first 2 shown]
	s_and_b32 exec_lo, exec_lo, vcc_lo
	s_cbranch_execz .LBB46_32
; %bb.31:
	ds_store_b32 v14, v1 offset:1036
.LBB46_32:
	s_or_b32 exec_lo, exec_lo, s11
	v_cmp_ne_u16_e32 vcc_lo, 0x7fff, v21
	v_cndmask_b32_e32 v1, 0xffff8000, v21, vcc_lo
	s_delay_alu instid0(VALU_DEP_1) | instskip(NEXT) | instid1(VALU_DEP_1)
	v_and_b32_e32 v1, 0xffff, v1
	v_and_b32_e32 v2, 7, v1
	v_lshrrev_b32_e32 v1, 2, v1
	s_delay_alu instid0(VALU_DEP_2) | instskip(NEXT) | instid1(VALU_DEP_2)
	v_mad_u32_u24 v2, v2, 37, v0
	v_and_b32_e32 v1, 2, v1
	s_delay_alu instid0(VALU_DEP_1)
	v_lshl_or_b32 v22, v2, 2, v1
	ds_load_u16 v23, v22
	s_waitcnt lgkmcnt(0)
	v_add_nc_u16 v1, v23, 1
	ds_store_b16 v22, v1
	s_waitcnt vmcnt(0) lgkmcnt(0)
	s_barrier
	buffer_gl0_inv
	ds_load_2addr_b64 v[5:8], v13 offset1:1
	ds_load_2addr_b64 v[1:4], v13 offset0:2 offset1:3
	s_waitcnt lgkmcnt(1)
	v_add_nc_u32_e32 v24, v6, v5
	s_delay_alu instid0(VALU_DEP_1) | instskip(SKIP_1) | instid1(VALU_DEP_1)
	v_add3_u32 v24, v24, v7, v8
	s_waitcnt lgkmcnt(0)
	v_add3_u32 v24, v24, v1, v2
	s_delay_alu instid0(VALU_DEP_1) | instskip(NEXT) | instid1(VALU_DEP_1)
	v_add3_u32 v4, v24, v3, v4
	v_mov_b32_dpp v24, v4 row_shr:1 row_mask:0xf bank_mask:0xf
	s_delay_alu instid0(VALU_DEP_1) | instskip(NEXT) | instid1(VALU_DEP_1)
	v_cndmask_b32_e64 v24, v24, 0, s8
	v_add_nc_u32_e32 v4, v24, v4
	s_delay_alu instid0(VALU_DEP_1) | instskip(NEXT) | instid1(VALU_DEP_1)
	v_mov_b32_dpp v24, v4 row_shr:2 row_mask:0xf bank_mask:0xf
	v_cndmask_b32_e64 v24, 0, v24, s7
	s_delay_alu instid0(VALU_DEP_1) | instskip(NEXT) | instid1(VALU_DEP_1)
	v_add_nc_u32_e32 v4, v4, v24
	v_mov_b32_dpp v24, v4 row_shr:4 row_mask:0xf bank_mask:0xf
	s_delay_alu instid0(VALU_DEP_1) | instskip(NEXT) | instid1(VALU_DEP_1)
	v_cndmask_b32_e64 v24, 0, v24, s6
	v_add_nc_u32_e32 v4, v4, v24
	s_delay_alu instid0(VALU_DEP_1) | instskip(NEXT) | instid1(VALU_DEP_1)
	v_mov_b32_dpp v24, v4 row_shr:8 row_mask:0xf bank_mask:0xf
	v_cndmask_b32_e64 v24, 0, v24, s5
	s_delay_alu instid0(VALU_DEP_1) | instskip(SKIP_3) | instid1(VALU_DEP_1)
	v_add_nc_u32_e32 v4, v4, v24
	ds_swizzle_b32 v24, v4 offset:swizzle(BROADCAST,32,15)
	s_waitcnt lgkmcnt(0)
	v_cndmask_b32_e64 v24, v24, 0, s4
	v_add_nc_u32_e32 v4, v4, v24
	s_and_saveexec_b32 s11, s9
	s_cbranch_execz .LBB46_34
; %bb.33:
	ds_store_b32 v17, v4 offset:1184
.LBB46_34:
	s_or_b32 exec_lo, exec_lo, s11
	s_waitcnt lgkmcnt(0)
	s_barrier
	buffer_gl0_inv
	s_and_saveexec_b32 s11, s2
	s_cbranch_execz .LBB46_36
; %bb.35:
	ds_load_b32 v24, v18 offset:1184
	s_waitcnt lgkmcnt(0)
	v_mov_b32_dpp v25, v24 row_shr:1 row_mask:0xf bank_mask:0xf
	s_delay_alu instid0(VALU_DEP_1) | instskip(NEXT) | instid1(VALU_DEP_1)
	v_cndmask_b32_e64 v25, v25, 0, s3
	v_add_nc_u32_e32 v24, v25, v24
	ds_store_b32 v18, v24 offset:1184
.LBB46_36:
	s_or_b32 exec_lo, exec_lo, s11
	v_dual_mov_b32 v24, 0 :: v_dual_mov_b32 v25, 0
	s_waitcnt lgkmcnt(0)
	s_barrier
	buffer_gl0_inv
	s_and_saveexec_b32 s11, s1
	s_cbranch_execz .LBB46_38
; %bb.37:
	ds_load_b32 v25, v17 offset:1180
.LBB46_38:
	s_or_b32 exec_lo, exec_lo, s11
	s_waitcnt lgkmcnt(0)
	v_add_nc_u32_e32 v4, v25, v4
	ds_load_b32 v24, v24 offset:1188
	ds_bpermute_b32 v4, v16, v4
	s_waitcnt lgkmcnt(0)
	v_cndmask_b32_e64 v4, v4, v25, s0
	s_delay_alu instid0(VALU_DEP_1) | instskip(NEXT) | instid1(VALU_DEP_1)
	v_lshl_add_u32 v4, v24, 16, v4
	v_add_nc_u32_e32 v5, v4, v5
	s_delay_alu instid0(VALU_DEP_1) | instskip(NEXT) | instid1(VALU_DEP_1)
	v_add_nc_u32_e32 v6, v5, v6
	v_add_nc_u32_e32 v7, v6, v7
	s_delay_alu instid0(VALU_DEP_1) | instskip(NEXT) | instid1(VALU_DEP_1)
	v_add_nc_u32_e32 v24, v7, v8
	;; [unrolled: 3-line block ×3, first 2 shown]
	v_add_nc_u32_e32 v2, v1, v3
	ds_store_2addr_b64 v13, v[4:5], v[6:7] offset1:1
	ds_store_2addr_b64 v13, v[24:25], v[1:2] offset0:2 offset1:3
	s_waitcnt lgkmcnt(0)
	s_barrier
	buffer_gl0_inv
	ds_load_u16 v1, v22
	v_and_b32_e32 v2, 0xffff, v23
	s_waitcnt lgkmcnt(0)
	s_barrier
	buffer_gl0_inv
	v_add_lshl_u32 v1, v1, v2, 1
	ds_store_b16 v1, v21
	v_add_nc_u32_e32 v1, v1, v1
	s_waitcnt lgkmcnt(0)
	s_barrier
	buffer_gl0_inv
	ds_load_u16 v21, v15
	s_waitcnt lgkmcnt(0)
	s_barrier
	buffer_gl0_inv
	ds_store_b32 v1, v20
	s_waitcnt lgkmcnt(0)
	s_barrier
	buffer_gl0_inv
	ds_load_b32 v20, v14
	s_waitcnt lgkmcnt(0)
	s_barrier
	buffer_gl0_inv
	s_and_saveexec_b32 s11, s10
	s_cbranch_execz .LBB46_47
; %bb.39:
	v_mov_b32_e32 v1, 0
	v_cmp_gt_u32_e32 vcc_lo, 0x103, v0
	ds_store_b32 v19, v1
	s_and_b32 exec_lo, exec_lo, vcc_lo
	s_cbranch_execz .LBB46_47
; %bb.40:
	v_cmp_gt_u32_e32 vcc_lo, 0xde, v0
	ds_store_b32 v19, v1 offset:148
	s_and_b32 exec_lo, exec_lo, vcc_lo
	s_cbranch_execz .LBB46_47
; %bb.41:
	v_mov_b32_e32 v1, 0
	v_cmp_gt_u32_e32 vcc_lo, 0xb9, v0
	ds_store_b32 v19, v1 offset:296
	s_and_b32 exec_lo, exec_lo, vcc_lo
	s_cbranch_execz .LBB46_47
; %bb.42:
	v_cmp_gt_u32_e32 vcc_lo, 0x94, v0
	ds_store_b32 v19, v1 offset:444
	s_and_b32 exec_lo, exec_lo, vcc_lo
	s_cbranch_execz .LBB46_47
; %bb.43:
	v_mov_b32_e32 v1, 0
	v_cmp_gt_u32_e32 vcc_lo, 0x6f, v0
	ds_store_b32 v19, v1 offset:592
	s_and_b32 exec_lo, exec_lo, vcc_lo
	s_cbranch_execz .LBB46_47
; %bb.44:
	v_cmp_gt_u32_e32 vcc_lo, 0x4a, v0
	ds_store_b32 v19, v1 offset:740
	s_and_b32 exec_lo, exec_lo, vcc_lo
	s_cbranch_execz .LBB46_47
; %bb.45:
	v_mov_b32_e32 v1, 0
	v_cmp_gt_u32_e32 vcc_lo, 37, v0
	ds_store_b32 v19, v1 offset:888
	s_and_b32 exec_lo, exec_lo, vcc_lo
	s_cbranch_execz .LBB46_47
; %bb.46:
	ds_store_b32 v19, v1 offset:1036
.LBB46_47:
	s_or_b32 exec_lo, exec_lo, s11
	v_lshrrev_b16 v1, 4, v21
	v_cmp_ne_u16_e32 vcc_lo, 0x7fff, v21
	s_delay_alu instid0(VALU_DEP_2) | instskip(NEXT) | instid1(VALU_DEP_1)
	v_cndmask_b32_e32 v1, 0x800, v1, vcc_lo
	v_and_b32_e32 v1, 0xffff, v1
	s_delay_alu instid0(VALU_DEP_1) | instskip(SKIP_1) | instid1(VALU_DEP_2)
	v_and_b32_e32 v2, 7, v1
	v_lshrrev_b32_e32 v1, 2, v1
	v_mad_u32_u24 v2, v2, 37, v0
	s_delay_alu instid0(VALU_DEP_2) | instskip(NEXT) | instid1(VALU_DEP_1)
	v_and_b32_e32 v1, 2, v1
	v_lshl_or_b32 v22, v2, 2, v1
	ds_load_u16 v23, v22
	s_waitcnt lgkmcnt(0)
	v_add_nc_u16 v1, v23, 1
	ds_store_b16 v22, v1
	s_waitcnt lgkmcnt(0)
	s_barrier
	buffer_gl0_inv
	ds_load_2addr_b64 v[5:8], v13 offset1:1
	ds_load_2addr_b64 v[1:4], v13 offset0:2 offset1:3
	s_waitcnt lgkmcnt(1)
	v_add_nc_u32_e32 v24, v6, v5
	s_delay_alu instid0(VALU_DEP_1) | instskip(SKIP_1) | instid1(VALU_DEP_1)
	v_add3_u32 v24, v24, v7, v8
	s_waitcnt lgkmcnt(0)
	v_add3_u32 v24, v24, v1, v2
	s_delay_alu instid0(VALU_DEP_1) | instskip(NEXT) | instid1(VALU_DEP_1)
	v_add3_u32 v4, v24, v3, v4
	v_mov_b32_dpp v24, v4 row_shr:1 row_mask:0xf bank_mask:0xf
	s_delay_alu instid0(VALU_DEP_1) | instskip(NEXT) | instid1(VALU_DEP_1)
	v_cndmask_b32_e64 v24, v24, 0, s8
	v_add_nc_u32_e32 v4, v24, v4
	s_delay_alu instid0(VALU_DEP_1) | instskip(NEXT) | instid1(VALU_DEP_1)
	v_mov_b32_dpp v24, v4 row_shr:2 row_mask:0xf bank_mask:0xf
	v_cndmask_b32_e64 v24, 0, v24, s7
	s_delay_alu instid0(VALU_DEP_1) | instskip(NEXT) | instid1(VALU_DEP_1)
	v_add_nc_u32_e32 v4, v4, v24
	v_mov_b32_dpp v24, v4 row_shr:4 row_mask:0xf bank_mask:0xf
	s_delay_alu instid0(VALU_DEP_1) | instskip(NEXT) | instid1(VALU_DEP_1)
	v_cndmask_b32_e64 v24, 0, v24, s6
	v_add_nc_u32_e32 v4, v4, v24
	s_delay_alu instid0(VALU_DEP_1) | instskip(NEXT) | instid1(VALU_DEP_1)
	v_mov_b32_dpp v24, v4 row_shr:8 row_mask:0xf bank_mask:0xf
	v_cndmask_b32_e64 v24, 0, v24, s5
	s_delay_alu instid0(VALU_DEP_1) | instskip(SKIP_3) | instid1(VALU_DEP_1)
	v_add_nc_u32_e32 v4, v4, v24
	ds_swizzle_b32 v24, v4 offset:swizzle(BROADCAST,32,15)
	s_waitcnt lgkmcnt(0)
	v_cndmask_b32_e64 v24, v24, 0, s4
	v_add_nc_u32_e32 v4, v4, v24
	s_and_saveexec_b32 s11, s9
	s_cbranch_execz .LBB46_49
; %bb.48:
	ds_store_b32 v17, v4 offset:1184
.LBB46_49:
	s_or_b32 exec_lo, exec_lo, s11
	s_waitcnt lgkmcnt(0)
	s_barrier
	buffer_gl0_inv
	s_and_saveexec_b32 s11, s2
	s_cbranch_execz .LBB46_51
; %bb.50:
	ds_load_b32 v24, v18 offset:1184
	s_waitcnt lgkmcnt(0)
	v_mov_b32_dpp v25, v24 row_shr:1 row_mask:0xf bank_mask:0xf
	s_delay_alu instid0(VALU_DEP_1) | instskip(NEXT) | instid1(VALU_DEP_1)
	v_cndmask_b32_e64 v25, v25, 0, s3
	v_add_nc_u32_e32 v24, v25, v24
	ds_store_b32 v18, v24 offset:1184
.LBB46_51:
	s_or_b32 exec_lo, exec_lo, s11
	v_dual_mov_b32 v24, 0 :: v_dual_mov_b32 v25, 0
	s_waitcnt lgkmcnt(0)
	s_barrier
	buffer_gl0_inv
	s_and_saveexec_b32 s11, s1
	s_cbranch_execz .LBB46_53
; %bb.52:
	ds_load_b32 v25, v17 offset:1180
.LBB46_53:
	s_or_b32 exec_lo, exec_lo, s11
	s_waitcnt lgkmcnt(0)
	v_add_nc_u32_e32 v4, v25, v4
	ds_load_b32 v24, v24 offset:1188
	ds_bpermute_b32 v4, v16, v4
	s_waitcnt lgkmcnt(0)
	v_cndmask_b32_e64 v4, v4, v25, s0
	s_delay_alu instid0(VALU_DEP_1) | instskip(NEXT) | instid1(VALU_DEP_1)
	v_lshl_add_u32 v4, v24, 16, v4
	v_add_nc_u32_e32 v5, v4, v5
	s_delay_alu instid0(VALU_DEP_1) | instskip(NEXT) | instid1(VALU_DEP_1)
	v_add_nc_u32_e32 v6, v5, v6
	v_add_nc_u32_e32 v7, v6, v7
	s_delay_alu instid0(VALU_DEP_1) | instskip(NEXT) | instid1(VALU_DEP_1)
	v_add_nc_u32_e32 v24, v7, v8
	;; [unrolled: 3-line block ×3, first 2 shown]
	v_add_nc_u32_e32 v2, v1, v3
	ds_store_2addr_b64 v13, v[4:5], v[6:7] offset1:1
	ds_store_2addr_b64 v13, v[24:25], v[1:2] offset0:2 offset1:3
	s_waitcnt lgkmcnt(0)
	s_barrier
	buffer_gl0_inv
	ds_load_u16 v1, v22
	v_and_b32_e32 v2, 0xffff, v23
	s_waitcnt lgkmcnt(0)
	s_barrier
	buffer_gl0_inv
	v_add_lshl_u32 v1, v1, v2, 1
	ds_store_b16 v1, v21
	v_add_nc_u32_e32 v1, v1, v1
	s_waitcnt lgkmcnt(0)
	s_barrier
	buffer_gl0_inv
	ds_load_u16 v21, v15
	s_waitcnt lgkmcnt(0)
	s_barrier
	buffer_gl0_inv
	ds_store_b32 v1, v20
	s_waitcnt lgkmcnt(0)
	s_barrier
	buffer_gl0_inv
	ds_load_b32 v20, v14
	s_waitcnt lgkmcnt(0)
	s_barrier
	buffer_gl0_inv
	s_and_saveexec_b32 s11, s10
	s_cbranch_execz .LBB46_62
; %bb.54:
	v_mov_b32_e32 v1, 0
	v_cmp_gt_u32_e32 vcc_lo, 0x103, v0
	ds_store_b32 v19, v1
	s_and_b32 exec_lo, exec_lo, vcc_lo
	s_cbranch_execz .LBB46_62
; %bb.55:
	v_cmp_gt_u32_e32 vcc_lo, 0xde, v0
	ds_store_b32 v19, v1 offset:148
	s_and_b32 exec_lo, exec_lo, vcc_lo
	s_cbranch_execz .LBB46_62
; %bb.56:
	v_mov_b32_e32 v1, 0
	v_cmp_gt_u32_e32 vcc_lo, 0xb9, v0
	ds_store_b32 v19, v1 offset:296
	s_and_b32 exec_lo, exec_lo, vcc_lo
	s_cbranch_execz .LBB46_62
; %bb.57:
	v_cmp_gt_u32_e32 vcc_lo, 0x94, v0
	ds_store_b32 v19, v1 offset:444
	s_and_b32 exec_lo, exec_lo, vcc_lo
	s_cbranch_execz .LBB46_62
; %bb.58:
	v_mov_b32_e32 v1, 0
	v_cmp_gt_u32_e32 vcc_lo, 0x6f, v0
	ds_store_b32 v19, v1 offset:592
	;; [unrolled: 11-line block ×3, first 2 shown]
	s_and_b32 exec_lo, exec_lo, vcc_lo
	s_cbranch_execz .LBB46_62
; %bb.61:
	ds_store_b32 v19, v1 offset:1036
.LBB46_62:
	s_or_b32 exec_lo, exec_lo, s11
	v_lshrrev_b16 v1, 8, v21
	v_cmp_ne_u16_e32 vcc_lo, 0x7fff, v21
	s_delay_alu instid0(VALU_DEP_2) | instskip(NEXT) | instid1(VALU_DEP_1)
	v_cndmask_b32_e32 v1, 0x80, v1, vcc_lo
	v_and_b32_e32 v1, 0xffff, v1
	s_delay_alu instid0(VALU_DEP_1) | instskip(SKIP_1) | instid1(VALU_DEP_2)
	v_and_b32_e32 v2, 7, v1
	v_lshrrev_b32_e32 v1, 2, v1
	v_mad_u32_u24 v2, v2, 37, v0
	s_delay_alu instid0(VALU_DEP_2) | instskip(NEXT) | instid1(VALU_DEP_1)
	v_and_b32_e32 v1, 2, v1
	v_lshl_or_b32 v22, v2, 2, v1
	ds_load_u16 v23, v22
	s_waitcnt lgkmcnt(0)
	v_add_nc_u16 v1, v23, 1
	ds_store_b16 v22, v1
	s_waitcnt lgkmcnt(0)
	s_barrier
	buffer_gl0_inv
	ds_load_2addr_b64 v[5:8], v13 offset1:1
	ds_load_2addr_b64 v[1:4], v13 offset0:2 offset1:3
	s_waitcnt lgkmcnt(1)
	v_add_nc_u32_e32 v24, v6, v5
	s_delay_alu instid0(VALU_DEP_1) | instskip(SKIP_1) | instid1(VALU_DEP_1)
	v_add3_u32 v24, v24, v7, v8
	s_waitcnt lgkmcnt(0)
	v_add3_u32 v24, v24, v1, v2
	s_delay_alu instid0(VALU_DEP_1) | instskip(NEXT) | instid1(VALU_DEP_1)
	v_add3_u32 v4, v24, v3, v4
	v_mov_b32_dpp v24, v4 row_shr:1 row_mask:0xf bank_mask:0xf
	s_delay_alu instid0(VALU_DEP_1) | instskip(NEXT) | instid1(VALU_DEP_1)
	v_cndmask_b32_e64 v24, v24, 0, s8
	v_add_nc_u32_e32 v4, v24, v4
	s_delay_alu instid0(VALU_DEP_1) | instskip(NEXT) | instid1(VALU_DEP_1)
	v_mov_b32_dpp v24, v4 row_shr:2 row_mask:0xf bank_mask:0xf
	v_cndmask_b32_e64 v24, 0, v24, s7
	s_delay_alu instid0(VALU_DEP_1) | instskip(NEXT) | instid1(VALU_DEP_1)
	v_add_nc_u32_e32 v4, v4, v24
	v_mov_b32_dpp v24, v4 row_shr:4 row_mask:0xf bank_mask:0xf
	s_delay_alu instid0(VALU_DEP_1) | instskip(NEXT) | instid1(VALU_DEP_1)
	v_cndmask_b32_e64 v24, 0, v24, s6
	v_add_nc_u32_e32 v4, v4, v24
	s_delay_alu instid0(VALU_DEP_1) | instskip(NEXT) | instid1(VALU_DEP_1)
	v_mov_b32_dpp v24, v4 row_shr:8 row_mask:0xf bank_mask:0xf
	v_cndmask_b32_e64 v24, 0, v24, s5
	s_delay_alu instid0(VALU_DEP_1) | instskip(SKIP_3) | instid1(VALU_DEP_1)
	v_add_nc_u32_e32 v4, v4, v24
	ds_swizzle_b32 v24, v4 offset:swizzle(BROADCAST,32,15)
	s_waitcnt lgkmcnt(0)
	v_cndmask_b32_e64 v24, v24, 0, s4
	v_add_nc_u32_e32 v4, v4, v24
	s_and_saveexec_b32 s11, s9
	s_cbranch_execz .LBB46_64
; %bb.63:
	ds_store_b32 v17, v4 offset:1184
.LBB46_64:
	s_or_b32 exec_lo, exec_lo, s11
	s_waitcnt lgkmcnt(0)
	s_barrier
	buffer_gl0_inv
	s_and_saveexec_b32 s11, s2
	s_cbranch_execz .LBB46_66
; %bb.65:
	ds_load_b32 v24, v18 offset:1184
	s_waitcnt lgkmcnt(0)
	v_mov_b32_dpp v25, v24 row_shr:1 row_mask:0xf bank_mask:0xf
	s_delay_alu instid0(VALU_DEP_1) | instskip(NEXT) | instid1(VALU_DEP_1)
	v_cndmask_b32_e64 v25, v25, 0, s3
	v_add_nc_u32_e32 v24, v25, v24
	ds_store_b32 v18, v24 offset:1184
.LBB46_66:
	s_or_b32 exec_lo, exec_lo, s11
	v_dual_mov_b32 v24, 0 :: v_dual_mov_b32 v25, 0
	s_waitcnt lgkmcnt(0)
	s_barrier
	buffer_gl0_inv
	s_and_saveexec_b32 s11, s1
	s_cbranch_execz .LBB46_68
; %bb.67:
	ds_load_b32 v25, v17 offset:1180
.LBB46_68:
	s_or_b32 exec_lo, exec_lo, s11
	s_waitcnt lgkmcnt(0)
	v_add_nc_u32_e32 v4, v25, v4
	ds_load_b32 v24, v24 offset:1188
	ds_bpermute_b32 v4, v16, v4
	s_waitcnt lgkmcnt(0)
	v_cndmask_b32_e64 v4, v4, v25, s0
	s_delay_alu instid0(VALU_DEP_1) | instskip(NEXT) | instid1(VALU_DEP_1)
	v_lshl_add_u32 v4, v24, 16, v4
	v_add_nc_u32_e32 v5, v4, v5
	s_delay_alu instid0(VALU_DEP_1) | instskip(NEXT) | instid1(VALU_DEP_1)
	v_add_nc_u32_e32 v6, v5, v6
	v_add_nc_u32_e32 v7, v6, v7
	s_delay_alu instid0(VALU_DEP_1) | instskip(NEXT) | instid1(VALU_DEP_1)
	v_add_nc_u32_e32 v24, v7, v8
	;; [unrolled: 3-line block ×3, first 2 shown]
	v_add_nc_u32_e32 v2, v1, v3
	ds_store_2addr_b64 v13, v[4:5], v[6:7] offset1:1
	ds_store_2addr_b64 v13, v[24:25], v[1:2] offset0:2 offset1:3
	s_waitcnt lgkmcnt(0)
	s_barrier
	buffer_gl0_inv
	ds_load_u16 v1, v22
	v_and_b32_e32 v2, 0xffff, v23
	s_waitcnt lgkmcnt(0)
	s_barrier
	buffer_gl0_inv
	v_add_lshl_u32 v1, v1, v2, 1
	ds_store_b16 v1, v21
	v_add_nc_u32_e32 v1, v1, v1
	s_waitcnt lgkmcnt(0)
	s_barrier
	buffer_gl0_inv
	ds_load_u16 v21, v15
	s_waitcnt lgkmcnt(0)
	s_barrier
	buffer_gl0_inv
	ds_store_b32 v1, v20
	s_waitcnt lgkmcnt(0)
	s_barrier
	buffer_gl0_inv
	ds_load_b32 v8, v14
	s_waitcnt lgkmcnt(0)
	s_barrier
	buffer_gl0_inv
	s_and_saveexec_b32 s11, s10
	s_cbranch_execz .LBB46_77
; %bb.69:
	v_mov_b32_e32 v1, 0
	v_cmp_gt_u32_e32 vcc_lo, 0x103, v0
	ds_store_b32 v19, v1
	s_and_b32 exec_lo, exec_lo, vcc_lo
	s_cbranch_execz .LBB46_77
; %bb.70:
	v_cmp_gt_u32_e32 vcc_lo, 0xde, v0
	ds_store_b32 v19, v1 offset:148
	s_and_b32 exec_lo, exec_lo, vcc_lo
	s_cbranch_execz .LBB46_77
; %bb.71:
	v_mov_b32_e32 v1, 0
	v_cmp_gt_u32_e32 vcc_lo, 0xb9, v0
	ds_store_b32 v19, v1 offset:296
	s_and_b32 exec_lo, exec_lo, vcc_lo
	s_cbranch_execz .LBB46_77
; %bb.72:
	v_cmp_gt_u32_e32 vcc_lo, 0x94, v0
	ds_store_b32 v19, v1 offset:444
	s_and_b32 exec_lo, exec_lo, vcc_lo
	s_cbranch_execz .LBB46_77
; %bb.73:
	v_mov_b32_e32 v1, 0
	v_cmp_gt_u32_e32 vcc_lo, 0x6f, v0
	ds_store_b32 v19, v1 offset:592
	;; [unrolled: 11-line block ×3, first 2 shown]
	s_and_b32 exec_lo, exec_lo, vcc_lo
	s_cbranch_execz .LBB46_77
; %bb.76:
	ds_store_b32 v19, v1 offset:1036
.LBB46_77:
	s_or_b32 exec_lo, exec_lo, s11
	v_lshrrev_b16 v1, 12, v21
	v_cmp_ne_u16_e32 vcc_lo, 0x7fff, v21
	s_delay_alu instid0(VALU_DEP_2) | instskip(NEXT) | instid1(VALU_DEP_1)
	v_cndmask_b32_e32 v1, 8, v1, vcc_lo
	v_and_b32_e32 v1, 0xffff, v1
	s_delay_alu instid0(VALU_DEP_1) | instskip(SKIP_1) | instid1(VALU_DEP_2)
	v_and_b32_e32 v2, 7, v1
	v_lshrrev_b32_e32 v1, 2, v1
	v_mad_u32_u24 v0, v2, 37, v0
	s_delay_alu instid0(VALU_DEP_2) | instskip(NEXT) | instid1(VALU_DEP_1)
	v_and_b32_e32 v1, 2, v1
	v_lshl_or_b32 v19, v0, 2, v1
	ds_load_u16 v20, v19
	s_waitcnt lgkmcnt(0)
	v_add_nc_u16 v0, v20, 1
	ds_store_b16 v19, v0
	s_waitcnt lgkmcnt(0)
	s_barrier
	buffer_gl0_inv
	ds_load_2addr_b64 v[4:7], v13 offset1:1
	ds_load_2addr_b64 v[0:3], v13 offset0:2 offset1:3
	s_waitcnt lgkmcnt(1)
	v_add_nc_u32_e32 v22, v5, v4
	s_delay_alu instid0(VALU_DEP_1) | instskip(SKIP_1) | instid1(VALU_DEP_1)
	v_add3_u32 v22, v22, v6, v7
	s_waitcnt lgkmcnt(0)
	v_add3_u32 v22, v22, v0, v1
	s_delay_alu instid0(VALU_DEP_1) | instskip(NEXT) | instid1(VALU_DEP_1)
	v_add3_u32 v3, v22, v2, v3
	v_mov_b32_dpp v22, v3 row_shr:1 row_mask:0xf bank_mask:0xf
	s_delay_alu instid0(VALU_DEP_1) | instskip(NEXT) | instid1(VALU_DEP_1)
	v_cndmask_b32_e64 v22, v22, 0, s8
	v_add_nc_u32_e32 v3, v22, v3
	s_delay_alu instid0(VALU_DEP_1) | instskip(NEXT) | instid1(VALU_DEP_1)
	v_mov_b32_dpp v22, v3 row_shr:2 row_mask:0xf bank_mask:0xf
	v_cndmask_b32_e64 v22, 0, v22, s7
	s_delay_alu instid0(VALU_DEP_1) | instskip(NEXT) | instid1(VALU_DEP_1)
	v_add_nc_u32_e32 v3, v3, v22
	v_mov_b32_dpp v22, v3 row_shr:4 row_mask:0xf bank_mask:0xf
	s_delay_alu instid0(VALU_DEP_1) | instskip(NEXT) | instid1(VALU_DEP_1)
	v_cndmask_b32_e64 v22, 0, v22, s6
	v_add_nc_u32_e32 v3, v3, v22
	s_delay_alu instid0(VALU_DEP_1) | instskip(NEXT) | instid1(VALU_DEP_1)
	v_mov_b32_dpp v22, v3 row_shr:8 row_mask:0xf bank_mask:0xf
	v_cndmask_b32_e64 v22, 0, v22, s5
	s_delay_alu instid0(VALU_DEP_1) | instskip(SKIP_3) | instid1(VALU_DEP_1)
	v_add_nc_u32_e32 v3, v3, v22
	ds_swizzle_b32 v22, v3 offset:swizzle(BROADCAST,32,15)
	s_waitcnt lgkmcnt(0)
	v_cndmask_b32_e64 v22, v22, 0, s4
	v_add_nc_u32_e32 v3, v3, v22
	s_and_saveexec_b32 s4, s9
	s_cbranch_execz .LBB46_79
; %bb.78:
	ds_store_b32 v17, v3 offset:1184
.LBB46_79:
	s_or_b32 exec_lo, exec_lo, s4
	s_waitcnt lgkmcnt(0)
	s_barrier
	buffer_gl0_inv
	s_and_saveexec_b32 s4, s2
	s_cbranch_execz .LBB46_81
; %bb.80:
	ds_load_b32 v22, v18 offset:1184
	s_waitcnt lgkmcnt(0)
	v_mov_b32_dpp v23, v22 row_shr:1 row_mask:0xf bank_mask:0xf
	s_delay_alu instid0(VALU_DEP_1) | instskip(NEXT) | instid1(VALU_DEP_1)
	v_cndmask_b32_e64 v23, v23, 0, s3
	v_add_nc_u32_e32 v22, v23, v22
	ds_store_b32 v18, v22 offset:1184
.LBB46_81:
	s_or_b32 exec_lo, exec_lo, s4
	v_mov_b32_e32 v18, 0
	v_mov_b32_e32 v22, 0
	s_waitcnt lgkmcnt(0)
	s_barrier
	buffer_gl0_inv
	s_and_saveexec_b32 s2, s1
	s_cbranch_execz .LBB46_83
; %bb.82:
	ds_load_b32 v22, v17 offset:1180
.LBB46_83:
	s_or_b32 exec_lo, exec_lo, s2
	s_waitcnt lgkmcnt(0)
	v_add_nc_u32_e32 v3, v22, v3
	ds_bpermute_b32 v3, v16, v3
	ds_load_b32 v16, v18 offset:1188
	s_waitcnt lgkmcnt(1)
	v_cndmask_b32_e64 v3, v3, v22, s0
	s_waitcnt lgkmcnt(0)
	s_delay_alu instid0(VALU_DEP_1) | instskip(NEXT) | instid1(VALU_DEP_1)
	v_lshl_add_u32 v3, v16, 16, v3
	v_add_nc_u32_e32 v4, v3, v4
	s_delay_alu instid0(VALU_DEP_1) | instskip(NEXT) | instid1(VALU_DEP_1)
	v_add_nc_u32_e32 v5, v4, v5
	v_add_nc_u32_e32 v6, v5, v6
	s_delay_alu instid0(VALU_DEP_1) | instskip(NEXT) | instid1(VALU_DEP_1)
	v_add_nc_u32_e32 v16, v6, v7
	v_add_nc_u32_e32 v17, v16, v0
	s_delay_alu instid0(VALU_DEP_1) | instskip(NEXT) | instid1(VALU_DEP_1)
	v_add_nc_u32_e32 v0, v17, v1
	v_add_nc_u32_e32 v1, v0, v2
	ds_store_2addr_b64 v13, v[3:4], v[5:6] offset1:1
	ds_store_2addr_b64 v13, v[16:17], v[0:1] offset0:2 offset1:3
	s_waitcnt lgkmcnt(0)
	s_barrier
	buffer_gl0_inv
	ds_load_u16 v0, v19
	v_and_b32_e32 v1, 0xffff, v20
	s_waitcnt lgkmcnt(0)
	s_barrier
	buffer_gl0_inv
	v_add_lshl_u32 v0, v0, v1, 1
	ds_store_b16 v0, v21
	s_waitcnt lgkmcnt(0)
	s_barrier
	buffer_gl0_inv
	ds_load_u16 v2, v15
	v_add_nc_u32_e32 v0, v0, v0
	s_waitcnt lgkmcnt(0)
	s_barrier
	buffer_gl0_inv
	ds_store_b32 v0, v8
	s_waitcnt lgkmcnt(0)
	s_barrier
.LBB46_84:
	s_waitcnt vmcnt(0)
	buffer_gl0_inv
	ds_load_b32 v0, v14
	v_cmp_lt_i16_e32 vcc_lo, -1, v2
	v_cndmask_b32_e64 v1, 0xffff8000, -1, vcc_lo
	s_delay_alu instid0(VALU_DEP_1)
	v_xor_b32_e32 v1, v1, v2
	global_store_b16 v[9:10], v1, off
	s_waitcnt lgkmcnt(0)
	global_store_b32 v[11:12], v0, off
	s_nop 0
	s_sendmsg sendmsg(MSG_DEALLOC_VGPRS)
	s_endpgm
	.section	.rodata,"a",@progbits
	.p2align	6, 0x0
	.amdhsa_kernel _Z21sort_key_value_kernelILj37ELj1ELb0ELb0E6__halfiEvPT3_PT4_jj
		.amdhsa_group_segment_fixed_size 1200
		.amdhsa_private_segment_fixed_size 0
		.amdhsa_kernarg_size 24
		.amdhsa_user_sgpr_count 15
		.amdhsa_user_sgpr_dispatch_ptr 0
		.amdhsa_user_sgpr_queue_ptr 0
		.amdhsa_user_sgpr_kernarg_segment_ptr 1
		.amdhsa_user_sgpr_dispatch_id 0
		.amdhsa_user_sgpr_private_segment_size 0
		.amdhsa_wavefront_size32 1
		.amdhsa_uses_dynamic_stack 0
		.amdhsa_enable_private_segment 0
		.amdhsa_system_sgpr_workgroup_id_x 1
		.amdhsa_system_sgpr_workgroup_id_y 0
		.amdhsa_system_sgpr_workgroup_id_z 0
		.amdhsa_system_sgpr_workgroup_info 0
		.amdhsa_system_vgpr_workitem_id 0
		.amdhsa_next_free_vgpr 26
		.amdhsa_next_free_sgpr 26
		.amdhsa_reserve_vcc 1
		.amdhsa_float_round_mode_32 0
		.amdhsa_float_round_mode_16_64 0
		.amdhsa_float_denorm_mode_32 3
		.amdhsa_float_denorm_mode_16_64 3
		.amdhsa_dx10_clamp 1
		.amdhsa_ieee_mode 1
		.amdhsa_fp16_overflow 0
		.amdhsa_workgroup_processor_mode 1
		.amdhsa_memory_ordered 1
		.amdhsa_forward_progress 0
		.amdhsa_shared_vgpr_count 0
		.amdhsa_exception_fp_ieee_invalid_op 0
		.amdhsa_exception_fp_denorm_src 0
		.amdhsa_exception_fp_ieee_div_zero 0
		.amdhsa_exception_fp_ieee_overflow 0
		.amdhsa_exception_fp_ieee_underflow 0
		.amdhsa_exception_fp_ieee_inexact 0
		.amdhsa_exception_int_div_zero 0
	.end_amdhsa_kernel
	.section	.text._Z21sort_key_value_kernelILj37ELj1ELb0ELb0E6__halfiEvPT3_PT4_jj,"axG",@progbits,_Z21sort_key_value_kernelILj37ELj1ELb0ELb0E6__halfiEvPT3_PT4_jj,comdat
.Lfunc_end46:
	.size	_Z21sort_key_value_kernelILj37ELj1ELb0ELb0E6__halfiEvPT3_PT4_jj, .Lfunc_end46-_Z21sort_key_value_kernelILj37ELj1ELb0ELb0E6__halfiEvPT3_PT4_jj
                                        ; -- End function
	.section	.AMDGPU.csdata,"",@progbits
; Kernel info:
; codeLenInByte = 5072
; NumSgprs: 28
; NumVgprs: 26
; ScratchSize: 0
; MemoryBound: 0
; FloatMode: 240
; IeeeMode: 1
; LDSByteSize: 1200 bytes/workgroup (compile time only)
; SGPRBlocks: 3
; VGPRBlocks: 3
; NumSGPRsForWavesPerEU: 28
; NumVGPRsForWavesPerEU: 26
; Occupancy: 16
; WaveLimiterHint : 0
; COMPUTE_PGM_RSRC2:SCRATCH_EN: 0
; COMPUTE_PGM_RSRC2:USER_SGPR: 15
; COMPUTE_PGM_RSRC2:TRAP_HANDLER: 0
; COMPUTE_PGM_RSRC2:TGID_X_EN: 1
; COMPUTE_PGM_RSRC2:TGID_Y_EN: 0
; COMPUTE_PGM_RSRC2:TGID_Z_EN: 0
; COMPUTE_PGM_RSRC2:TIDIG_COMP_CNT: 0
	.section	.text._Z21sort_key_value_kernelILj37ELj1ELb0ELb0E12hip_bfloat16iEvPT3_PT4_jj,"axG",@progbits,_Z21sort_key_value_kernelILj37ELj1ELb0ELb0E12hip_bfloat16iEvPT3_PT4_jj,comdat
	.protected	_Z21sort_key_value_kernelILj37ELj1ELb0ELb0E12hip_bfloat16iEvPT3_PT4_jj ; -- Begin function _Z21sort_key_value_kernelILj37ELj1ELb0ELb0E12hip_bfloat16iEvPT3_PT4_jj
	.globl	_Z21sort_key_value_kernelILj37ELj1ELb0ELb0E12hip_bfloat16iEvPT3_PT4_jj
	.p2align	8
	.type	_Z21sort_key_value_kernelILj37ELj1ELb0ELb0E12hip_bfloat16iEvPT3_PT4_jj,@function
_Z21sort_key_value_kernelILj37ELj1ELb0ELb0E12hip_bfloat16iEvPT3_PT4_jj: ; @_Z21sort_key_value_kernelILj37ELj1ELb0ELb0E12hip_bfloat16iEvPT3_PT4_jj
; %bb.0:
	s_clause 0x1
	s_load_b128 s[4:7], s[0:1], 0x0
	s_load_b64 s[22:23], s[0:1], 0x10
	v_mbcnt_lo_u32_b32 v2, -1, 0
	s_mov_b32 s3, 0
	s_mul_i32 s2, s15, 37
	v_lshlrev_b32_e32 v19, 2, v0
	s_lshl_b64 s[8:9], s[2:3], 1
	v_add_nc_u32_e32 v6, -1, v2
	v_and_b32_e32 v3, 15, v2
	v_and_b32_e32 v4, 16, v2
	;; [unrolled: 1-line block ×3, first 2 shown]
	v_lshlrev_b32_e32 v13, 5, v0
	v_cmp_gt_i32_e32 vcc_lo, 0, v6
	v_lshlrev_b32_e32 v9, 1, v0
	v_and_b32_e32 v5, 32, v0
	v_lshrrev_b32_e32 v7, 3, v0
	v_mad_i32_i24 v18, 0xffffffe4, v0, v13
	v_cmp_gt_u32_e64 s10, 0x128, v0
	s_delay_alu instid0(VALU_DEP_3)
	v_and_b32_e32 v17, 4, v7
	s_waitcnt lgkmcnt(0)
	s_add_u32 s18, s4, s8
	s_addc_u32 s19, s5, s9
	s_lshl_b64 s[0:1], s[2:3], 2
	v_cmp_eq_u32_e64 s8, 0, v3
	s_add_u32 s20, s6, s0
	v_cmp_eq_u32_e64 s0, 0, v2
	v_cndmask_b32_e32 v2, v6, v2, vcc_lo
	global_load_u16 v1, v9, s[18:19]
	s_addc_u32 s21, s7, s1
	v_cmp_lt_u32_e64 s7, 1, v3
	global_load_b32 v20, v19, s[20:21]
	v_cmp_lt_u32_e64 s6, 3, v3
	v_cmp_lt_u32_e64 s5, 7, v3
	v_min_u32_e32 v3, 5, v5
	s_cmp_eq_u32 s22, 0
	v_lshlrev_b32_e32 v16, 2, v2
	s_cselect_b32 s11, -1, 0
	s_cmp_eq_u32 s23, 16
	v_add_nc_u32_e32 v3, 31, v3
	v_sub_nc_u32_e32 v15, v18, v9
	s_cselect_b32 s12, -1, 0
	v_cmp_gt_u32_e64 s2, 2, v0
	s_and_b32 s11, s11, s12
	v_cmp_lt_u32_e64 s1, 31, v0
	v_cmp_eq_u32_e64 s4, 0, v4
	v_cmp_eq_u32_e64 s3, 0, v8
	v_cmp_eq_u32_e64 s9, v3, v0
	v_add_nc_u32_e32 v14, v15, v9
	s_mov_b32 s12, -1
	s_waitcnt vmcnt(1)
	v_cmp_lt_i16_e32 vcc_lo, -1, v1
	v_cndmask_b32_e64 v2, -1, 0xffff8000, vcc_lo
	s_and_b32 vcc_lo, exec_lo, s11
	v_cmp_gt_u32_e64 s11, 0x103, v0
	s_delay_alu instid0(VALU_DEP_2)
	v_xor_b32_e32 v21, v2, v1
	s_cbranch_vccnz .LBB47_21
; %bb.1:
	v_cmp_gt_u32_e64 s12, 0xde, v0
	v_cmp_gt_u32_e64 s13, 0xb9, v0
	;; [unrolled: 1-line block ×6, first 2 shown]
	v_dual_mov_b32 v11, 0 :: v_dual_mov_b32 v2, v21
	s_waitcnt vmcnt(0)
	v_mov_b32_e32 v3, v20
	s_sub_i32 s24, s23, s22
	s_branch .LBB47_3
.LBB47_2:                               ;   in Loop: Header=BB47_3 Depth=1
	s_delay_alu instid0(VALU_DEP_1)
	v_add_nc_u32_e32 v3, v1, v1
	s_barrier
	buffer_gl0_inv
	ds_store_b16 v1, v12
	s_waitcnt lgkmcnt(0)
	s_barrier
	buffer_gl0_inv
	ds_load_u16 v2, v15
	s_waitcnt lgkmcnt(0)
	s_barrier
	buffer_gl0_inv
	ds_store_b32 v3, v10
	s_waitcnt lgkmcnt(0)
	s_barrier
	buffer_gl0_inv
	ds_load_b32 v3, v14
	s_add_i32 s24, s24, -4
	s_waitcnt lgkmcnt(0)
	s_barrier
	buffer_gl0_inv
	s_cbranch_execz .LBB47_20
.LBB47_3:                               ; =>This Inner Loop Header: Depth=1
	v_mov_b32_e32 v12, v2
	s_delay_alu instid0(VALU_DEP_2)
	v_mov_b32_e32 v10, v3
	s_and_saveexec_b32 s25, s10
	s_cbranch_execz .LBB47_12
; %bb.4:                                ;   in Loop: Header=BB47_3 Depth=1
	ds_store_b32 v19, v11
	s_and_b32 exec_lo, exec_lo, s11
	s_cbranch_execz .LBB47_12
; %bb.5:                                ;   in Loop: Header=BB47_3 Depth=1
	ds_store_b32 v19, v11 offset:148
	s_and_b32 exec_lo, exec_lo, s12
	s_cbranch_execz .LBB47_12
; %bb.6:                                ;   in Loop: Header=BB47_3 Depth=1
	ds_store_b32 v19, v11 offset:296
	;; [unrolled: 4-line block ×5, first 2 shown]
	s_and_b32 exec_lo, exec_lo, s16
	s_cbranch_execz .LBB47_12
; %bb.10:                               ;   in Loop: Header=BB47_3 Depth=1
	ds_store_b32 v19, v11 offset:888
	s_and_b32 exec_lo, exec_lo, s17
	s_cbranch_execz .LBB47_12
; %bb.11:                               ;   in Loop: Header=BB47_3 Depth=1
	ds_store_b32 v19, v11 offset:1036
.LBB47_12:                              ;   in Loop: Header=BB47_3 Depth=1
	s_or_b32 exec_lo, exec_lo, s25
	v_cmp_ne_u16_e32 vcc_lo, 0x7fff, v12
	s_min_u32 s25, s24, 4
	v_cndmask_b32_e32 v1, 0xffff8000, v12, vcc_lo
	s_delay_alu instid0(VALU_DEP_1) | instskip(NEXT) | instid1(VALU_DEP_1)
	v_and_b32_e32 v1, 0xffff, v1
	v_lshrrev_b32_e32 v1, s22, v1
	s_delay_alu instid0(VALU_DEP_1) | instskip(NEXT) | instid1(VALU_DEP_1)
	v_bfe_u32 v1, v1, 0, s25
	v_and_b32_e32 v2, 7, v1
	v_lshrrev_b32_e32 v1, 3, v1
	s_delay_alu instid0(VALU_DEP_2) | instskip(NEXT) | instid1(VALU_DEP_1)
	v_mul_u32_u24_e32 v2, 37, v2
	v_add_lshl_u32 v2, v2, v0, 1
	s_delay_alu instid0(VALU_DEP_1)
	v_add_lshl_u32 v22, v2, v1, 1
	ds_load_u16 v23, v22
	s_waitcnt lgkmcnt(0)
	v_add_nc_u16 v1, v23, 1
	ds_store_b16 v22, v1
	s_waitcnt lgkmcnt(0)
	s_barrier
	buffer_gl0_inv
	ds_load_2addr_b64 v[5:8], v13 offset1:1
	ds_load_2addr_b64 v[1:4], v13 offset0:2 offset1:3
	s_waitcnt lgkmcnt(1)
	v_add_nc_u32_e32 v24, v6, v5
	s_delay_alu instid0(VALU_DEP_1) | instskip(SKIP_1) | instid1(VALU_DEP_1)
	v_add3_u32 v24, v24, v7, v8
	s_waitcnt lgkmcnt(0)
	v_add3_u32 v24, v24, v1, v2
	s_delay_alu instid0(VALU_DEP_1) | instskip(NEXT) | instid1(VALU_DEP_1)
	v_add3_u32 v4, v24, v3, v4
	v_mov_b32_dpp v24, v4 row_shr:1 row_mask:0xf bank_mask:0xf
	s_delay_alu instid0(VALU_DEP_1) | instskip(NEXT) | instid1(VALU_DEP_1)
	v_cndmask_b32_e64 v24, v24, 0, s8
	v_add_nc_u32_e32 v4, v24, v4
	s_delay_alu instid0(VALU_DEP_1) | instskip(NEXT) | instid1(VALU_DEP_1)
	v_mov_b32_dpp v24, v4 row_shr:2 row_mask:0xf bank_mask:0xf
	v_cndmask_b32_e64 v24, 0, v24, s7
	s_delay_alu instid0(VALU_DEP_1) | instskip(NEXT) | instid1(VALU_DEP_1)
	v_add_nc_u32_e32 v4, v4, v24
	v_mov_b32_dpp v24, v4 row_shr:4 row_mask:0xf bank_mask:0xf
	s_delay_alu instid0(VALU_DEP_1) | instskip(NEXT) | instid1(VALU_DEP_1)
	v_cndmask_b32_e64 v24, 0, v24, s6
	v_add_nc_u32_e32 v4, v4, v24
	s_delay_alu instid0(VALU_DEP_1) | instskip(NEXT) | instid1(VALU_DEP_1)
	v_mov_b32_dpp v24, v4 row_shr:8 row_mask:0xf bank_mask:0xf
	v_cndmask_b32_e64 v24, 0, v24, s5
	s_delay_alu instid0(VALU_DEP_1) | instskip(SKIP_3) | instid1(VALU_DEP_1)
	v_add_nc_u32_e32 v4, v4, v24
	ds_swizzle_b32 v24, v4 offset:swizzle(BROADCAST,32,15)
	s_waitcnt lgkmcnt(0)
	v_cndmask_b32_e64 v24, v24, 0, s4
	v_add_nc_u32_e32 v4, v4, v24
	s_and_saveexec_b32 s25, s9
	s_cbranch_execz .LBB47_14
; %bb.13:                               ;   in Loop: Header=BB47_3 Depth=1
	ds_store_b32 v17, v4 offset:1184
.LBB47_14:                              ;   in Loop: Header=BB47_3 Depth=1
	s_or_b32 exec_lo, exec_lo, s25
	s_waitcnt lgkmcnt(0)
	s_barrier
	buffer_gl0_inv
	s_and_saveexec_b32 s25, s2
	s_cbranch_execz .LBB47_16
; %bb.15:                               ;   in Loop: Header=BB47_3 Depth=1
	ds_load_b32 v24, v18 offset:1184
	s_waitcnt lgkmcnt(0)
	v_mov_b32_dpp v25, v24 row_shr:1 row_mask:0xf bank_mask:0xf
	s_delay_alu instid0(VALU_DEP_1) | instskip(NEXT) | instid1(VALU_DEP_1)
	v_cndmask_b32_e64 v25, v25, 0, s3
	v_add_nc_u32_e32 v24, v25, v24
	ds_store_b32 v18, v24 offset:1184
.LBB47_16:                              ;   in Loop: Header=BB47_3 Depth=1
	s_or_b32 exec_lo, exec_lo, s25
	v_mov_b32_e32 v24, 0
	s_waitcnt lgkmcnt(0)
	s_barrier
	buffer_gl0_inv
	s_and_saveexec_b32 s25, s1
	s_cbranch_execz .LBB47_18
; %bb.17:                               ;   in Loop: Header=BB47_3 Depth=1
	ds_load_b32 v24, v17 offset:1180
.LBB47_18:                              ;   in Loop: Header=BB47_3 Depth=1
	s_or_b32 exec_lo, exec_lo, s25
	s_waitcnt lgkmcnt(0)
	v_add_nc_u32_e32 v4, v24, v4
	ds_load_b32 v25, v11 offset:1188
	s_add_i32 s22, s22, 4
	s_delay_alu instid0(SALU_CYCLE_1) | instskip(SKIP_3) | instid1(VALU_DEP_1)
	s_cmp_ge_u32 s22, s23
	ds_bpermute_b32 v4, v16, v4
	s_waitcnt lgkmcnt(0)
	v_cndmask_b32_e64 v4, v4, v24, s0
	v_lshl_add_u32 v4, v25, 16, v4
	s_delay_alu instid0(VALU_DEP_1) | instskip(NEXT) | instid1(VALU_DEP_1)
	v_add_nc_u32_e32 v5, v4, v5
	v_add_nc_u32_e32 v6, v5, v6
	s_delay_alu instid0(VALU_DEP_1) | instskip(NEXT) | instid1(VALU_DEP_1)
	v_add_nc_u32_e32 v7, v6, v7
	v_add_nc_u32_e32 v24, v7, v8
	;; [unrolled: 3-line block ×3, first 2 shown]
	s_delay_alu instid0(VALU_DEP_1)
	v_add_nc_u32_e32 v2, v1, v3
	ds_store_2addr_b64 v13, v[4:5], v[6:7] offset1:1
	ds_store_2addr_b64 v13, v[24:25], v[1:2] offset0:2 offset1:3
	s_waitcnt lgkmcnt(0)
	s_barrier
	buffer_gl0_inv
	ds_load_u16 v1, v22
	v_and_b32_e32 v2, 0xffff, v23
	s_waitcnt lgkmcnt(0)
	s_delay_alu instid0(VALU_DEP_1)
	v_add_lshl_u32 v1, v1, v2, 1
	s_cbranch_scc0 .LBB47_2
; %bb.19:
                                        ; implicit-def: $vgpr2
                                        ; implicit-def: $vgpr3
                                        ; implicit-def: $sgpr24
.LBB47_20:
	s_barrier
	buffer_gl0_inv
	ds_store_b16 v1, v12
	s_waitcnt lgkmcnt(0)
	s_barrier
	buffer_gl0_inv
	ds_load_u16 v2, v15
	v_add_nc_u32_e32 v1, v1, v1
	s_mov_b32 s12, 0
	s_waitcnt lgkmcnt(0)
	s_barrier
	buffer_gl0_inv
	ds_store_b32 v1, v10
	s_waitcnt lgkmcnt(0)
	s_barrier
	s_branch .LBB47_22
.LBB47_21:
                                        ; implicit-def: $vgpr2
.LBB47_22:
	v_add_co_u32 v9, s11, s18, v9
	s_delay_alu instid0(VALU_DEP_1) | instskip(SKIP_1) | instid1(VALU_DEP_1)
	v_add_co_ci_u32_e64 v10, null, s19, 0, s11
	v_add_co_u32 v11, s11, s20, v19
	v_add_co_ci_u32_e64 v12, null, s21, 0, s11
	s_and_b32 vcc_lo, exec_lo, s12
	s_cbranch_vccz .LBB47_84
; %bb.23:
	s_and_saveexec_b32 s11, s10
	s_cbranch_execz .LBB47_32
; %bb.24:
	v_mov_b32_e32 v1, 0
	v_cmp_gt_u32_e32 vcc_lo, 0x103, v0
	ds_store_b32 v14, v1
	s_and_b32 exec_lo, exec_lo, vcc_lo
	s_cbranch_execz .LBB47_32
; %bb.25:
	v_cmp_gt_u32_e32 vcc_lo, 0xde, v0
	ds_store_b32 v14, v1 offset:148
	s_and_b32 exec_lo, exec_lo, vcc_lo
	s_cbranch_execz .LBB47_32
; %bb.26:
	v_mov_b32_e32 v1, 0
	v_cmp_gt_u32_e32 vcc_lo, 0xb9, v0
	ds_store_b32 v14, v1 offset:296
	s_and_b32 exec_lo, exec_lo, vcc_lo
	s_cbranch_execz .LBB47_32
; %bb.27:
	v_cmp_gt_u32_e32 vcc_lo, 0x94, v0
	ds_store_b32 v14, v1 offset:444
	s_and_b32 exec_lo, exec_lo, vcc_lo
	s_cbranch_execz .LBB47_32
; %bb.28:
	v_mov_b32_e32 v1, 0
	v_cmp_gt_u32_e32 vcc_lo, 0x6f, v0
	ds_store_b32 v14, v1 offset:592
	;; [unrolled: 11-line block ×3, first 2 shown]
	s_and_b32 exec_lo, exec_lo, vcc_lo
	s_cbranch_execz .LBB47_32
; %bb.31:
	ds_store_b32 v14, v1 offset:1036
.LBB47_32:
	s_or_b32 exec_lo, exec_lo, s11
	v_cmp_ne_u16_e32 vcc_lo, 0x7fff, v21
	v_cndmask_b32_e32 v1, 0xffff8000, v21, vcc_lo
	s_delay_alu instid0(VALU_DEP_1) | instskip(NEXT) | instid1(VALU_DEP_1)
	v_and_b32_e32 v1, 0xffff, v1
	v_and_b32_e32 v2, 7, v1
	v_lshrrev_b32_e32 v1, 2, v1
	s_delay_alu instid0(VALU_DEP_2) | instskip(NEXT) | instid1(VALU_DEP_2)
	v_mad_u32_u24 v2, v2, 37, v0
	v_and_b32_e32 v1, 2, v1
	s_delay_alu instid0(VALU_DEP_1)
	v_lshl_or_b32 v22, v2, 2, v1
	ds_load_u16 v23, v22
	s_waitcnt lgkmcnt(0)
	v_add_nc_u16 v1, v23, 1
	ds_store_b16 v22, v1
	s_waitcnt vmcnt(0) lgkmcnt(0)
	s_barrier
	buffer_gl0_inv
	ds_load_2addr_b64 v[5:8], v13 offset1:1
	ds_load_2addr_b64 v[1:4], v13 offset0:2 offset1:3
	s_waitcnt lgkmcnt(1)
	v_add_nc_u32_e32 v24, v6, v5
	s_delay_alu instid0(VALU_DEP_1) | instskip(SKIP_1) | instid1(VALU_DEP_1)
	v_add3_u32 v24, v24, v7, v8
	s_waitcnt lgkmcnt(0)
	v_add3_u32 v24, v24, v1, v2
	s_delay_alu instid0(VALU_DEP_1) | instskip(NEXT) | instid1(VALU_DEP_1)
	v_add3_u32 v4, v24, v3, v4
	v_mov_b32_dpp v24, v4 row_shr:1 row_mask:0xf bank_mask:0xf
	s_delay_alu instid0(VALU_DEP_1) | instskip(NEXT) | instid1(VALU_DEP_1)
	v_cndmask_b32_e64 v24, v24, 0, s8
	v_add_nc_u32_e32 v4, v24, v4
	s_delay_alu instid0(VALU_DEP_1) | instskip(NEXT) | instid1(VALU_DEP_1)
	v_mov_b32_dpp v24, v4 row_shr:2 row_mask:0xf bank_mask:0xf
	v_cndmask_b32_e64 v24, 0, v24, s7
	s_delay_alu instid0(VALU_DEP_1) | instskip(NEXT) | instid1(VALU_DEP_1)
	v_add_nc_u32_e32 v4, v4, v24
	v_mov_b32_dpp v24, v4 row_shr:4 row_mask:0xf bank_mask:0xf
	s_delay_alu instid0(VALU_DEP_1) | instskip(NEXT) | instid1(VALU_DEP_1)
	v_cndmask_b32_e64 v24, 0, v24, s6
	v_add_nc_u32_e32 v4, v4, v24
	s_delay_alu instid0(VALU_DEP_1) | instskip(NEXT) | instid1(VALU_DEP_1)
	v_mov_b32_dpp v24, v4 row_shr:8 row_mask:0xf bank_mask:0xf
	v_cndmask_b32_e64 v24, 0, v24, s5
	s_delay_alu instid0(VALU_DEP_1) | instskip(SKIP_3) | instid1(VALU_DEP_1)
	v_add_nc_u32_e32 v4, v4, v24
	ds_swizzle_b32 v24, v4 offset:swizzle(BROADCAST,32,15)
	s_waitcnt lgkmcnt(0)
	v_cndmask_b32_e64 v24, v24, 0, s4
	v_add_nc_u32_e32 v4, v4, v24
	s_and_saveexec_b32 s11, s9
	s_cbranch_execz .LBB47_34
; %bb.33:
	ds_store_b32 v17, v4 offset:1184
.LBB47_34:
	s_or_b32 exec_lo, exec_lo, s11
	s_waitcnt lgkmcnt(0)
	s_barrier
	buffer_gl0_inv
	s_and_saveexec_b32 s11, s2
	s_cbranch_execz .LBB47_36
; %bb.35:
	ds_load_b32 v24, v18 offset:1184
	s_waitcnt lgkmcnt(0)
	v_mov_b32_dpp v25, v24 row_shr:1 row_mask:0xf bank_mask:0xf
	s_delay_alu instid0(VALU_DEP_1) | instskip(NEXT) | instid1(VALU_DEP_1)
	v_cndmask_b32_e64 v25, v25, 0, s3
	v_add_nc_u32_e32 v24, v25, v24
	ds_store_b32 v18, v24 offset:1184
.LBB47_36:
	s_or_b32 exec_lo, exec_lo, s11
	v_dual_mov_b32 v24, 0 :: v_dual_mov_b32 v25, 0
	s_waitcnt lgkmcnt(0)
	s_barrier
	buffer_gl0_inv
	s_and_saveexec_b32 s11, s1
	s_cbranch_execz .LBB47_38
; %bb.37:
	ds_load_b32 v25, v17 offset:1180
.LBB47_38:
	s_or_b32 exec_lo, exec_lo, s11
	s_waitcnt lgkmcnt(0)
	v_add_nc_u32_e32 v4, v25, v4
	ds_load_b32 v24, v24 offset:1188
	ds_bpermute_b32 v4, v16, v4
	s_waitcnt lgkmcnt(0)
	v_cndmask_b32_e64 v4, v4, v25, s0
	s_delay_alu instid0(VALU_DEP_1) | instskip(NEXT) | instid1(VALU_DEP_1)
	v_lshl_add_u32 v4, v24, 16, v4
	v_add_nc_u32_e32 v5, v4, v5
	s_delay_alu instid0(VALU_DEP_1) | instskip(NEXT) | instid1(VALU_DEP_1)
	v_add_nc_u32_e32 v6, v5, v6
	v_add_nc_u32_e32 v7, v6, v7
	s_delay_alu instid0(VALU_DEP_1) | instskip(NEXT) | instid1(VALU_DEP_1)
	v_add_nc_u32_e32 v24, v7, v8
	;; [unrolled: 3-line block ×3, first 2 shown]
	v_add_nc_u32_e32 v2, v1, v3
	ds_store_2addr_b64 v13, v[4:5], v[6:7] offset1:1
	ds_store_2addr_b64 v13, v[24:25], v[1:2] offset0:2 offset1:3
	s_waitcnt lgkmcnt(0)
	s_barrier
	buffer_gl0_inv
	ds_load_u16 v1, v22
	v_and_b32_e32 v2, 0xffff, v23
	s_waitcnt lgkmcnt(0)
	s_barrier
	buffer_gl0_inv
	v_add_lshl_u32 v1, v1, v2, 1
	ds_store_b16 v1, v21
	v_add_nc_u32_e32 v1, v1, v1
	s_waitcnt lgkmcnt(0)
	s_barrier
	buffer_gl0_inv
	ds_load_u16 v21, v15
	s_waitcnt lgkmcnt(0)
	s_barrier
	buffer_gl0_inv
	ds_store_b32 v1, v20
	s_waitcnt lgkmcnt(0)
	s_barrier
	buffer_gl0_inv
	ds_load_b32 v20, v14
	s_waitcnt lgkmcnt(0)
	s_barrier
	buffer_gl0_inv
	s_and_saveexec_b32 s11, s10
	s_cbranch_execz .LBB47_47
; %bb.39:
	v_mov_b32_e32 v1, 0
	v_cmp_gt_u32_e32 vcc_lo, 0x103, v0
	ds_store_b32 v19, v1
	s_and_b32 exec_lo, exec_lo, vcc_lo
	s_cbranch_execz .LBB47_47
; %bb.40:
	v_cmp_gt_u32_e32 vcc_lo, 0xde, v0
	ds_store_b32 v19, v1 offset:148
	s_and_b32 exec_lo, exec_lo, vcc_lo
	s_cbranch_execz .LBB47_47
; %bb.41:
	v_mov_b32_e32 v1, 0
	v_cmp_gt_u32_e32 vcc_lo, 0xb9, v0
	ds_store_b32 v19, v1 offset:296
	s_and_b32 exec_lo, exec_lo, vcc_lo
	s_cbranch_execz .LBB47_47
; %bb.42:
	v_cmp_gt_u32_e32 vcc_lo, 0x94, v0
	ds_store_b32 v19, v1 offset:444
	s_and_b32 exec_lo, exec_lo, vcc_lo
	s_cbranch_execz .LBB47_47
; %bb.43:
	v_mov_b32_e32 v1, 0
	v_cmp_gt_u32_e32 vcc_lo, 0x6f, v0
	ds_store_b32 v19, v1 offset:592
	;; [unrolled: 11-line block ×3, first 2 shown]
	s_and_b32 exec_lo, exec_lo, vcc_lo
	s_cbranch_execz .LBB47_47
; %bb.46:
	ds_store_b32 v19, v1 offset:1036
.LBB47_47:
	s_or_b32 exec_lo, exec_lo, s11
	v_lshrrev_b16 v1, 4, v21
	v_cmp_ne_u16_e32 vcc_lo, 0x7fff, v21
	s_delay_alu instid0(VALU_DEP_2) | instskip(NEXT) | instid1(VALU_DEP_1)
	v_cndmask_b32_e32 v1, 0x800, v1, vcc_lo
	v_and_b32_e32 v1, 0xffff, v1
	s_delay_alu instid0(VALU_DEP_1) | instskip(SKIP_1) | instid1(VALU_DEP_2)
	v_and_b32_e32 v2, 7, v1
	v_lshrrev_b32_e32 v1, 2, v1
	v_mad_u32_u24 v2, v2, 37, v0
	s_delay_alu instid0(VALU_DEP_2) | instskip(NEXT) | instid1(VALU_DEP_1)
	v_and_b32_e32 v1, 2, v1
	v_lshl_or_b32 v22, v2, 2, v1
	ds_load_u16 v23, v22
	s_waitcnt lgkmcnt(0)
	v_add_nc_u16 v1, v23, 1
	ds_store_b16 v22, v1
	s_waitcnt lgkmcnt(0)
	s_barrier
	buffer_gl0_inv
	ds_load_2addr_b64 v[5:8], v13 offset1:1
	ds_load_2addr_b64 v[1:4], v13 offset0:2 offset1:3
	s_waitcnt lgkmcnt(1)
	v_add_nc_u32_e32 v24, v6, v5
	s_delay_alu instid0(VALU_DEP_1) | instskip(SKIP_1) | instid1(VALU_DEP_1)
	v_add3_u32 v24, v24, v7, v8
	s_waitcnt lgkmcnt(0)
	v_add3_u32 v24, v24, v1, v2
	s_delay_alu instid0(VALU_DEP_1) | instskip(NEXT) | instid1(VALU_DEP_1)
	v_add3_u32 v4, v24, v3, v4
	v_mov_b32_dpp v24, v4 row_shr:1 row_mask:0xf bank_mask:0xf
	s_delay_alu instid0(VALU_DEP_1) | instskip(NEXT) | instid1(VALU_DEP_1)
	v_cndmask_b32_e64 v24, v24, 0, s8
	v_add_nc_u32_e32 v4, v24, v4
	s_delay_alu instid0(VALU_DEP_1) | instskip(NEXT) | instid1(VALU_DEP_1)
	v_mov_b32_dpp v24, v4 row_shr:2 row_mask:0xf bank_mask:0xf
	v_cndmask_b32_e64 v24, 0, v24, s7
	s_delay_alu instid0(VALU_DEP_1) | instskip(NEXT) | instid1(VALU_DEP_1)
	v_add_nc_u32_e32 v4, v4, v24
	v_mov_b32_dpp v24, v4 row_shr:4 row_mask:0xf bank_mask:0xf
	s_delay_alu instid0(VALU_DEP_1) | instskip(NEXT) | instid1(VALU_DEP_1)
	v_cndmask_b32_e64 v24, 0, v24, s6
	v_add_nc_u32_e32 v4, v4, v24
	s_delay_alu instid0(VALU_DEP_1) | instskip(NEXT) | instid1(VALU_DEP_1)
	v_mov_b32_dpp v24, v4 row_shr:8 row_mask:0xf bank_mask:0xf
	v_cndmask_b32_e64 v24, 0, v24, s5
	s_delay_alu instid0(VALU_DEP_1) | instskip(SKIP_3) | instid1(VALU_DEP_1)
	v_add_nc_u32_e32 v4, v4, v24
	ds_swizzle_b32 v24, v4 offset:swizzle(BROADCAST,32,15)
	s_waitcnt lgkmcnt(0)
	v_cndmask_b32_e64 v24, v24, 0, s4
	v_add_nc_u32_e32 v4, v4, v24
	s_and_saveexec_b32 s11, s9
	s_cbranch_execz .LBB47_49
; %bb.48:
	ds_store_b32 v17, v4 offset:1184
.LBB47_49:
	s_or_b32 exec_lo, exec_lo, s11
	s_waitcnt lgkmcnt(0)
	s_barrier
	buffer_gl0_inv
	s_and_saveexec_b32 s11, s2
	s_cbranch_execz .LBB47_51
; %bb.50:
	ds_load_b32 v24, v18 offset:1184
	s_waitcnt lgkmcnt(0)
	v_mov_b32_dpp v25, v24 row_shr:1 row_mask:0xf bank_mask:0xf
	s_delay_alu instid0(VALU_DEP_1) | instskip(NEXT) | instid1(VALU_DEP_1)
	v_cndmask_b32_e64 v25, v25, 0, s3
	v_add_nc_u32_e32 v24, v25, v24
	ds_store_b32 v18, v24 offset:1184
.LBB47_51:
	s_or_b32 exec_lo, exec_lo, s11
	v_dual_mov_b32 v24, 0 :: v_dual_mov_b32 v25, 0
	s_waitcnt lgkmcnt(0)
	s_barrier
	buffer_gl0_inv
	s_and_saveexec_b32 s11, s1
	s_cbranch_execz .LBB47_53
; %bb.52:
	ds_load_b32 v25, v17 offset:1180
.LBB47_53:
	s_or_b32 exec_lo, exec_lo, s11
	s_waitcnt lgkmcnt(0)
	v_add_nc_u32_e32 v4, v25, v4
	ds_load_b32 v24, v24 offset:1188
	ds_bpermute_b32 v4, v16, v4
	s_waitcnt lgkmcnt(0)
	v_cndmask_b32_e64 v4, v4, v25, s0
	s_delay_alu instid0(VALU_DEP_1) | instskip(NEXT) | instid1(VALU_DEP_1)
	v_lshl_add_u32 v4, v24, 16, v4
	v_add_nc_u32_e32 v5, v4, v5
	s_delay_alu instid0(VALU_DEP_1) | instskip(NEXT) | instid1(VALU_DEP_1)
	v_add_nc_u32_e32 v6, v5, v6
	v_add_nc_u32_e32 v7, v6, v7
	s_delay_alu instid0(VALU_DEP_1) | instskip(NEXT) | instid1(VALU_DEP_1)
	v_add_nc_u32_e32 v24, v7, v8
	;; [unrolled: 3-line block ×3, first 2 shown]
	v_add_nc_u32_e32 v2, v1, v3
	ds_store_2addr_b64 v13, v[4:5], v[6:7] offset1:1
	ds_store_2addr_b64 v13, v[24:25], v[1:2] offset0:2 offset1:3
	s_waitcnt lgkmcnt(0)
	s_barrier
	buffer_gl0_inv
	ds_load_u16 v1, v22
	v_and_b32_e32 v2, 0xffff, v23
	s_waitcnt lgkmcnt(0)
	s_barrier
	buffer_gl0_inv
	v_add_lshl_u32 v1, v1, v2, 1
	ds_store_b16 v1, v21
	v_add_nc_u32_e32 v1, v1, v1
	s_waitcnt lgkmcnt(0)
	s_barrier
	buffer_gl0_inv
	ds_load_u16 v21, v15
	s_waitcnt lgkmcnt(0)
	s_barrier
	buffer_gl0_inv
	ds_store_b32 v1, v20
	s_waitcnt lgkmcnt(0)
	s_barrier
	buffer_gl0_inv
	ds_load_b32 v20, v14
	s_waitcnt lgkmcnt(0)
	s_barrier
	buffer_gl0_inv
	s_and_saveexec_b32 s11, s10
	s_cbranch_execz .LBB47_62
; %bb.54:
	v_mov_b32_e32 v1, 0
	v_cmp_gt_u32_e32 vcc_lo, 0x103, v0
	ds_store_b32 v19, v1
	s_and_b32 exec_lo, exec_lo, vcc_lo
	s_cbranch_execz .LBB47_62
; %bb.55:
	v_cmp_gt_u32_e32 vcc_lo, 0xde, v0
	ds_store_b32 v19, v1 offset:148
	s_and_b32 exec_lo, exec_lo, vcc_lo
	s_cbranch_execz .LBB47_62
; %bb.56:
	v_mov_b32_e32 v1, 0
	v_cmp_gt_u32_e32 vcc_lo, 0xb9, v0
	ds_store_b32 v19, v1 offset:296
	s_and_b32 exec_lo, exec_lo, vcc_lo
	s_cbranch_execz .LBB47_62
; %bb.57:
	v_cmp_gt_u32_e32 vcc_lo, 0x94, v0
	ds_store_b32 v19, v1 offset:444
	s_and_b32 exec_lo, exec_lo, vcc_lo
	s_cbranch_execz .LBB47_62
; %bb.58:
	v_mov_b32_e32 v1, 0
	v_cmp_gt_u32_e32 vcc_lo, 0x6f, v0
	ds_store_b32 v19, v1 offset:592
	;; [unrolled: 11-line block ×3, first 2 shown]
	s_and_b32 exec_lo, exec_lo, vcc_lo
	s_cbranch_execz .LBB47_62
; %bb.61:
	ds_store_b32 v19, v1 offset:1036
.LBB47_62:
	s_or_b32 exec_lo, exec_lo, s11
	v_lshrrev_b16 v1, 8, v21
	v_cmp_ne_u16_e32 vcc_lo, 0x7fff, v21
	s_delay_alu instid0(VALU_DEP_2) | instskip(NEXT) | instid1(VALU_DEP_1)
	v_cndmask_b32_e32 v1, 0x80, v1, vcc_lo
	v_and_b32_e32 v1, 0xffff, v1
	s_delay_alu instid0(VALU_DEP_1) | instskip(SKIP_1) | instid1(VALU_DEP_2)
	v_and_b32_e32 v2, 7, v1
	v_lshrrev_b32_e32 v1, 2, v1
	v_mad_u32_u24 v2, v2, 37, v0
	s_delay_alu instid0(VALU_DEP_2) | instskip(NEXT) | instid1(VALU_DEP_1)
	v_and_b32_e32 v1, 2, v1
	v_lshl_or_b32 v22, v2, 2, v1
	ds_load_u16 v23, v22
	s_waitcnt lgkmcnt(0)
	v_add_nc_u16 v1, v23, 1
	ds_store_b16 v22, v1
	s_waitcnt lgkmcnt(0)
	s_barrier
	buffer_gl0_inv
	ds_load_2addr_b64 v[5:8], v13 offset1:1
	ds_load_2addr_b64 v[1:4], v13 offset0:2 offset1:3
	s_waitcnt lgkmcnt(1)
	v_add_nc_u32_e32 v24, v6, v5
	s_delay_alu instid0(VALU_DEP_1) | instskip(SKIP_1) | instid1(VALU_DEP_1)
	v_add3_u32 v24, v24, v7, v8
	s_waitcnt lgkmcnt(0)
	v_add3_u32 v24, v24, v1, v2
	s_delay_alu instid0(VALU_DEP_1) | instskip(NEXT) | instid1(VALU_DEP_1)
	v_add3_u32 v4, v24, v3, v4
	v_mov_b32_dpp v24, v4 row_shr:1 row_mask:0xf bank_mask:0xf
	s_delay_alu instid0(VALU_DEP_1) | instskip(NEXT) | instid1(VALU_DEP_1)
	v_cndmask_b32_e64 v24, v24, 0, s8
	v_add_nc_u32_e32 v4, v24, v4
	s_delay_alu instid0(VALU_DEP_1) | instskip(NEXT) | instid1(VALU_DEP_1)
	v_mov_b32_dpp v24, v4 row_shr:2 row_mask:0xf bank_mask:0xf
	v_cndmask_b32_e64 v24, 0, v24, s7
	s_delay_alu instid0(VALU_DEP_1) | instskip(NEXT) | instid1(VALU_DEP_1)
	v_add_nc_u32_e32 v4, v4, v24
	v_mov_b32_dpp v24, v4 row_shr:4 row_mask:0xf bank_mask:0xf
	s_delay_alu instid0(VALU_DEP_1) | instskip(NEXT) | instid1(VALU_DEP_1)
	v_cndmask_b32_e64 v24, 0, v24, s6
	v_add_nc_u32_e32 v4, v4, v24
	s_delay_alu instid0(VALU_DEP_1) | instskip(NEXT) | instid1(VALU_DEP_1)
	v_mov_b32_dpp v24, v4 row_shr:8 row_mask:0xf bank_mask:0xf
	v_cndmask_b32_e64 v24, 0, v24, s5
	s_delay_alu instid0(VALU_DEP_1) | instskip(SKIP_3) | instid1(VALU_DEP_1)
	v_add_nc_u32_e32 v4, v4, v24
	ds_swizzle_b32 v24, v4 offset:swizzle(BROADCAST,32,15)
	s_waitcnt lgkmcnt(0)
	v_cndmask_b32_e64 v24, v24, 0, s4
	v_add_nc_u32_e32 v4, v4, v24
	s_and_saveexec_b32 s11, s9
	s_cbranch_execz .LBB47_64
; %bb.63:
	ds_store_b32 v17, v4 offset:1184
.LBB47_64:
	s_or_b32 exec_lo, exec_lo, s11
	s_waitcnt lgkmcnt(0)
	s_barrier
	buffer_gl0_inv
	s_and_saveexec_b32 s11, s2
	s_cbranch_execz .LBB47_66
; %bb.65:
	ds_load_b32 v24, v18 offset:1184
	s_waitcnt lgkmcnt(0)
	v_mov_b32_dpp v25, v24 row_shr:1 row_mask:0xf bank_mask:0xf
	s_delay_alu instid0(VALU_DEP_1) | instskip(NEXT) | instid1(VALU_DEP_1)
	v_cndmask_b32_e64 v25, v25, 0, s3
	v_add_nc_u32_e32 v24, v25, v24
	ds_store_b32 v18, v24 offset:1184
.LBB47_66:
	s_or_b32 exec_lo, exec_lo, s11
	v_dual_mov_b32 v24, 0 :: v_dual_mov_b32 v25, 0
	s_waitcnt lgkmcnt(0)
	s_barrier
	buffer_gl0_inv
	s_and_saveexec_b32 s11, s1
	s_cbranch_execz .LBB47_68
; %bb.67:
	ds_load_b32 v25, v17 offset:1180
.LBB47_68:
	s_or_b32 exec_lo, exec_lo, s11
	s_waitcnt lgkmcnt(0)
	v_add_nc_u32_e32 v4, v25, v4
	ds_load_b32 v24, v24 offset:1188
	ds_bpermute_b32 v4, v16, v4
	s_waitcnt lgkmcnt(0)
	v_cndmask_b32_e64 v4, v4, v25, s0
	s_delay_alu instid0(VALU_DEP_1) | instskip(NEXT) | instid1(VALU_DEP_1)
	v_lshl_add_u32 v4, v24, 16, v4
	v_add_nc_u32_e32 v5, v4, v5
	s_delay_alu instid0(VALU_DEP_1) | instskip(NEXT) | instid1(VALU_DEP_1)
	v_add_nc_u32_e32 v6, v5, v6
	v_add_nc_u32_e32 v7, v6, v7
	s_delay_alu instid0(VALU_DEP_1) | instskip(NEXT) | instid1(VALU_DEP_1)
	v_add_nc_u32_e32 v24, v7, v8
	;; [unrolled: 3-line block ×3, first 2 shown]
	v_add_nc_u32_e32 v2, v1, v3
	ds_store_2addr_b64 v13, v[4:5], v[6:7] offset1:1
	ds_store_2addr_b64 v13, v[24:25], v[1:2] offset0:2 offset1:3
	s_waitcnt lgkmcnt(0)
	s_barrier
	buffer_gl0_inv
	ds_load_u16 v1, v22
	v_and_b32_e32 v2, 0xffff, v23
	s_waitcnt lgkmcnt(0)
	s_barrier
	buffer_gl0_inv
	v_add_lshl_u32 v1, v1, v2, 1
	ds_store_b16 v1, v21
	v_add_nc_u32_e32 v1, v1, v1
	s_waitcnt lgkmcnt(0)
	s_barrier
	buffer_gl0_inv
	ds_load_u16 v21, v15
	s_waitcnt lgkmcnt(0)
	s_barrier
	buffer_gl0_inv
	ds_store_b32 v1, v20
	s_waitcnt lgkmcnt(0)
	s_barrier
	buffer_gl0_inv
	ds_load_b32 v8, v14
	s_waitcnt lgkmcnt(0)
	s_barrier
	buffer_gl0_inv
	s_and_saveexec_b32 s11, s10
	s_cbranch_execz .LBB47_77
; %bb.69:
	v_mov_b32_e32 v1, 0
	v_cmp_gt_u32_e32 vcc_lo, 0x103, v0
	ds_store_b32 v19, v1
	s_and_b32 exec_lo, exec_lo, vcc_lo
	s_cbranch_execz .LBB47_77
; %bb.70:
	v_cmp_gt_u32_e32 vcc_lo, 0xde, v0
	ds_store_b32 v19, v1 offset:148
	s_and_b32 exec_lo, exec_lo, vcc_lo
	s_cbranch_execz .LBB47_77
; %bb.71:
	v_mov_b32_e32 v1, 0
	v_cmp_gt_u32_e32 vcc_lo, 0xb9, v0
	ds_store_b32 v19, v1 offset:296
	s_and_b32 exec_lo, exec_lo, vcc_lo
	s_cbranch_execz .LBB47_77
; %bb.72:
	v_cmp_gt_u32_e32 vcc_lo, 0x94, v0
	ds_store_b32 v19, v1 offset:444
	s_and_b32 exec_lo, exec_lo, vcc_lo
	s_cbranch_execz .LBB47_77
; %bb.73:
	v_mov_b32_e32 v1, 0
	v_cmp_gt_u32_e32 vcc_lo, 0x6f, v0
	ds_store_b32 v19, v1 offset:592
	;; [unrolled: 11-line block ×3, first 2 shown]
	s_and_b32 exec_lo, exec_lo, vcc_lo
	s_cbranch_execz .LBB47_77
; %bb.76:
	ds_store_b32 v19, v1 offset:1036
.LBB47_77:
	s_or_b32 exec_lo, exec_lo, s11
	v_lshrrev_b16 v1, 12, v21
	v_cmp_ne_u16_e32 vcc_lo, 0x7fff, v21
	s_delay_alu instid0(VALU_DEP_2) | instskip(NEXT) | instid1(VALU_DEP_1)
	v_cndmask_b32_e32 v1, 8, v1, vcc_lo
	v_and_b32_e32 v1, 0xffff, v1
	s_delay_alu instid0(VALU_DEP_1) | instskip(SKIP_1) | instid1(VALU_DEP_2)
	v_and_b32_e32 v2, 7, v1
	v_lshrrev_b32_e32 v1, 2, v1
	v_mad_u32_u24 v0, v2, 37, v0
	s_delay_alu instid0(VALU_DEP_2) | instskip(NEXT) | instid1(VALU_DEP_1)
	v_and_b32_e32 v1, 2, v1
	v_lshl_or_b32 v19, v0, 2, v1
	ds_load_u16 v20, v19
	s_waitcnt lgkmcnt(0)
	v_add_nc_u16 v0, v20, 1
	ds_store_b16 v19, v0
	s_waitcnt lgkmcnt(0)
	s_barrier
	buffer_gl0_inv
	ds_load_2addr_b64 v[4:7], v13 offset1:1
	ds_load_2addr_b64 v[0:3], v13 offset0:2 offset1:3
	s_waitcnt lgkmcnt(1)
	v_add_nc_u32_e32 v22, v5, v4
	s_delay_alu instid0(VALU_DEP_1) | instskip(SKIP_1) | instid1(VALU_DEP_1)
	v_add3_u32 v22, v22, v6, v7
	s_waitcnt lgkmcnt(0)
	v_add3_u32 v22, v22, v0, v1
	s_delay_alu instid0(VALU_DEP_1) | instskip(NEXT) | instid1(VALU_DEP_1)
	v_add3_u32 v3, v22, v2, v3
	v_mov_b32_dpp v22, v3 row_shr:1 row_mask:0xf bank_mask:0xf
	s_delay_alu instid0(VALU_DEP_1) | instskip(NEXT) | instid1(VALU_DEP_1)
	v_cndmask_b32_e64 v22, v22, 0, s8
	v_add_nc_u32_e32 v3, v22, v3
	s_delay_alu instid0(VALU_DEP_1) | instskip(NEXT) | instid1(VALU_DEP_1)
	v_mov_b32_dpp v22, v3 row_shr:2 row_mask:0xf bank_mask:0xf
	v_cndmask_b32_e64 v22, 0, v22, s7
	s_delay_alu instid0(VALU_DEP_1) | instskip(NEXT) | instid1(VALU_DEP_1)
	v_add_nc_u32_e32 v3, v3, v22
	v_mov_b32_dpp v22, v3 row_shr:4 row_mask:0xf bank_mask:0xf
	s_delay_alu instid0(VALU_DEP_1) | instskip(NEXT) | instid1(VALU_DEP_1)
	v_cndmask_b32_e64 v22, 0, v22, s6
	v_add_nc_u32_e32 v3, v3, v22
	s_delay_alu instid0(VALU_DEP_1) | instskip(NEXT) | instid1(VALU_DEP_1)
	v_mov_b32_dpp v22, v3 row_shr:8 row_mask:0xf bank_mask:0xf
	v_cndmask_b32_e64 v22, 0, v22, s5
	s_delay_alu instid0(VALU_DEP_1) | instskip(SKIP_3) | instid1(VALU_DEP_1)
	v_add_nc_u32_e32 v3, v3, v22
	ds_swizzle_b32 v22, v3 offset:swizzle(BROADCAST,32,15)
	s_waitcnt lgkmcnt(0)
	v_cndmask_b32_e64 v22, v22, 0, s4
	v_add_nc_u32_e32 v3, v3, v22
	s_and_saveexec_b32 s4, s9
	s_cbranch_execz .LBB47_79
; %bb.78:
	ds_store_b32 v17, v3 offset:1184
.LBB47_79:
	s_or_b32 exec_lo, exec_lo, s4
	s_waitcnt lgkmcnt(0)
	s_barrier
	buffer_gl0_inv
	s_and_saveexec_b32 s4, s2
	s_cbranch_execz .LBB47_81
; %bb.80:
	ds_load_b32 v22, v18 offset:1184
	s_waitcnt lgkmcnt(0)
	v_mov_b32_dpp v23, v22 row_shr:1 row_mask:0xf bank_mask:0xf
	s_delay_alu instid0(VALU_DEP_1) | instskip(NEXT) | instid1(VALU_DEP_1)
	v_cndmask_b32_e64 v23, v23, 0, s3
	v_add_nc_u32_e32 v22, v23, v22
	ds_store_b32 v18, v22 offset:1184
.LBB47_81:
	s_or_b32 exec_lo, exec_lo, s4
	v_mov_b32_e32 v18, 0
	v_mov_b32_e32 v22, 0
	s_waitcnt lgkmcnt(0)
	s_barrier
	buffer_gl0_inv
	s_and_saveexec_b32 s2, s1
	s_cbranch_execz .LBB47_83
; %bb.82:
	ds_load_b32 v22, v17 offset:1180
.LBB47_83:
	s_or_b32 exec_lo, exec_lo, s2
	s_waitcnt lgkmcnt(0)
	v_add_nc_u32_e32 v3, v22, v3
	ds_bpermute_b32 v3, v16, v3
	ds_load_b32 v16, v18 offset:1188
	s_waitcnt lgkmcnt(1)
	v_cndmask_b32_e64 v3, v3, v22, s0
	s_waitcnt lgkmcnt(0)
	s_delay_alu instid0(VALU_DEP_1) | instskip(NEXT) | instid1(VALU_DEP_1)
	v_lshl_add_u32 v3, v16, 16, v3
	v_add_nc_u32_e32 v4, v3, v4
	s_delay_alu instid0(VALU_DEP_1) | instskip(NEXT) | instid1(VALU_DEP_1)
	v_add_nc_u32_e32 v5, v4, v5
	v_add_nc_u32_e32 v6, v5, v6
	s_delay_alu instid0(VALU_DEP_1) | instskip(NEXT) | instid1(VALU_DEP_1)
	v_add_nc_u32_e32 v16, v6, v7
	v_add_nc_u32_e32 v17, v16, v0
	s_delay_alu instid0(VALU_DEP_1) | instskip(NEXT) | instid1(VALU_DEP_1)
	v_add_nc_u32_e32 v0, v17, v1
	v_add_nc_u32_e32 v1, v0, v2
	ds_store_2addr_b64 v13, v[3:4], v[5:6] offset1:1
	ds_store_2addr_b64 v13, v[16:17], v[0:1] offset0:2 offset1:3
	s_waitcnt lgkmcnt(0)
	s_barrier
	buffer_gl0_inv
	ds_load_u16 v0, v19
	v_and_b32_e32 v1, 0xffff, v20
	s_waitcnt lgkmcnt(0)
	s_barrier
	buffer_gl0_inv
	v_add_lshl_u32 v0, v0, v1, 1
	ds_store_b16 v0, v21
	s_waitcnt lgkmcnt(0)
	s_barrier
	buffer_gl0_inv
	ds_load_u16 v2, v15
	v_add_nc_u32_e32 v0, v0, v0
	s_waitcnt lgkmcnt(0)
	s_barrier
	buffer_gl0_inv
	ds_store_b32 v0, v8
	s_waitcnt lgkmcnt(0)
	s_barrier
.LBB47_84:
	s_waitcnt vmcnt(0)
	buffer_gl0_inv
	ds_load_b32 v0, v14
	v_cmp_lt_i16_e32 vcc_lo, -1, v2
	v_cndmask_b32_e64 v1, 0xffff8000, -1, vcc_lo
	s_delay_alu instid0(VALU_DEP_1)
	v_xor_b32_e32 v1, v1, v2
	global_store_b16 v[9:10], v1, off
	s_waitcnt lgkmcnt(0)
	global_store_b32 v[11:12], v0, off
	s_nop 0
	s_sendmsg sendmsg(MSG_DEALLOC_VGPRS)
	s_endpgm
	.section	.rodata,"a",@progbits
	.p2align	6, 0x0
	.amdhsa_kernel _Z21sort_key_value_kernelILj37ELj1ELb0ELb0E12hip_bfloat16iEvPT3_PT4_jj
		.amdhsa_group_segment_fixed_size 1200
		.amdhsa_private_segment_fixed_size 0
		.amdhsa_kernarg_size 24
		.amdhsa_user_sgpr_count 15
		.amdhsa_user_sgpr_dispatch_ptr 0
		.amdhsa_user_sgpr_queue_ptr 0
		.amdhsa_user_sgpr_kernarg_segment_ptr 1
		.amdhsa_user_sgpr_dispatch_id 0
		.amdhsa_user_sgpr_private_segment_size 0
		.amdhsa_wavefront_size32 1
		.amdhsa_uses_dynamic_stack 0
		.amdhsa_enable_private_segment 0
		.amdhsa_system_sgpr_workgroup_id_x 1
		.amdhsa_system_sgpr_workgroup_id_y 0
		.amdhsa_system_sgpr_workgroup_id_z 0
		.amdhsa_system_sgpr_workgroup_info 0
		.amdhsa_system_vgpr_workitem_id 0
		.amdhsa_next_free_vgpr 26
		.amdhsa_next_free_sgpr 26
		.amdhsa_reserve_vcc 1
		.amdhsa_float_round_mode_32 0
		.amdhsa_float_round_mode_16_64 0
		.amdhsa_float_denorm_mode_32 3
		.amdhsa_float_denorm_mode_16_64 3
		.amdhsa_dx10_clamp 1
		.amdhsa_ieee_mode 1
		.amdhsa_fp16_overflow 0
		.amdhsa_workgroup_processor_mode 1
		.amdhsa_memory_ordered 1
		.amdhsa_forward_progress 0
		.amdhsa_shared_vgpr_count 0
		.amdhsa_exception_fp_ieee_invalid_op 0
		.amdhsa_exception_fp_denorm_src 0
		.amdhsa_exception_fp_ieee_div_zero 0
		.amdhsa_exception_fp_ieee_overflow 0
		.amdhsa_exception_fp_ieee_underflow 0
		.amdhsa_exception_fp_ieee_inexact 0
		.amdhsa_exception_int_div_zero 0
	.end_amdhsa_kernel
	.section	.text._Z21sort_key_value_kernelILj37ELj1ELb0ELb0E12hip_bfloat16iEvPT3_PT4_jj,"axG",@progbits,_Z21sort_key_value_kernelILj37ELj1ELb0ELb0E12hip_bfloat16iEvPT3_PT4_jj,comdat
.Lfunc_end47:
	.size	_Z21sort_key_value_kernelILj37ELj1ELb0ELb0E12hip_bfloat16iEvPT3_PT4_jj, .Lfunc_end47-_Z21sort_key_value_kernelILj37ELj1ELb0ELb0E12hip_bfloat16iEvPT3_PT4_jj
                                        ; -- End function
	.section	.AMDGPU.csdata,"",@progbits
; Kernel info:
; codeLenInByte = 5072
; NumSgprs: 28
; NumVgprs: 26
; ScratchSize: 0
; MemoryBound: 0
; FloatMode: 240
; IeeeMode: 1
; LDSByteSize: 1200 bytes/workgroup (compile time only)
; SGPRBlocks: 3
; VGPRBlocks: 3
; NumSGPRsForWavesPerEU: 28
; NumVGPRsForWavesPerEU: 26
; Occupancy: 16
; WaveLimiterHint : 0
; COMPUTE_PGM_RSRC2:SCRATCH_EN: 0
; COMPUTE_PGM_RSRC2:USER_SGPR: 15
; COMPUTE_PGM_RSRC2:TRAP_HANDLER: 0
; COMPUTE_PGM_RSRC2:TGID_X_EN: 1
; COMPUTE_PGM_RSRC2:TGID_Y_EN: 0
; COMPUTE_PGM_RSRC2:TGID_Z_EN: 0
; COMPUTE_PGM_RSRC2:TIDIG_COMP_CNT: 0
	.section	.text._Z21sort_key_value_kernelILj37ELj1ELb0ELb0EfiEvPT3_PT4_jj,"axG",@progbits,_Z21sort_key_value_kernelILj37ELj1ELb0ELb0EfiEvPT3_PT4_jj,comdat
	.protected	_Z21sort_key_value_kernelILj37ELj1ELb0ELb0EfiEvPT3_PT4_jj ; -- Begin function _Z21sort_key_value_kernelILj37ELj1ELb0ELb0EfiEvPT3_PT4_jj
	.globl	_Z21sort_key_value_kernelILj37ELj1ELb0ELb0EfiEvPT3_PT4_jj
	.p2align	8
	.type	_Z21sort_key_value_kernelILj37ELj1ELb0ELb0EfiEvPT3_PT4_jj,@function
_Z21sort_key_value_kernelILj37ELj1ELb0ELb0EfiEvPT3_PT4_jj: ; @_Z21sort_key_value_kernelILj37ELj1ELb0ELb0EfiEvPT3_PT4_jj
; %bb.0:
	s_clause 0x1
	s_load_b128 s[4:7], s[0:1], 0x0
	s_load_b64 s[22:23], s[0:1], 0x10
	v_mbcnt_lo_u32_b32 v2, -1, 0
	s_mov_b32 s3, 0
	s_mul_i32 s2, s15, 37
	v_and_b32_e32 v5, 32, v0
	s_lshl_b64 s[2:3], s[2:3], 2
	v_add_nc_u32_e32 v6, -1, v2
	v_and_b32_e32 v3, 15, v2
	v_and_b32_e32 v4, 16, v2
	v_cmp_eq_u32_e64 s0, 0, v2
	v_and_b32_e32 v9, 1, v2
	v_cmp_gt_i32_e32 vcc_lo, 0, v6
	v_lshlrev_b32_e32 v17, 2, v0
	v_cmp_eq_u32_e64 s8, 0, v3
	v_lshlrev_b32_e32 v13, 5, v0
	v_lshrrev_b32_e32 v7, 3, v0
	v_cndmask_b32_e32 v2, v6, v2, vcc_lo
	v_mul_i32_i24_e32 v8, 0xffffffe4, v0
	v_cmp_gt_u32_e64 s10, 0x128, v0
	s_waitcnt lgkmcnt(0)
	s_add_u32 s18, s4, s2
	s_addc_u32 s19, s5, s3
	s_add_u32 s20, s6, s2
	global_load_b32 v1, v17, s[18:19]
	s_addc_u32 s21, s7, s3
	v_cmp_lt_u32_e64 s7, 1, v3
	global_load_b32 v18, v17, s[20:21]
	v_cmp_lt_u32_e64 s6, 3, v3
	v_cmp_lt_u32_e64 s5, 7, v3
	v_min_u32_e32 v3, 5, v5
	s_cmp_eq_u32 s22, 0
	v_cmp_eq_u32_e64 s4, 0, v4
	s_cselect_b32 s9, -1, 0
	s_cmp_eq_u32 s23, 32
	v_add_nc_u32_e32 v3, 31, v3
	s_cselect_b32 s11, -1, 0
	v_cmp_gt_u32_e64 s2, 2, v0
	s_and_b32 s11, s9, s11
	v_cmp_lt_u32_e64 s1, 31, v0
	v_and_b32_e32 v15, 4, v7
	v_cmp_eq_u32_e64 s3, 0, v9
	v_add_nc_u32_e32 v14, v13, v8
	v_lshlrev_b32_e32 v16, 2, v2
	v_cmp_eq_u32_e64 s9, v3, v0
	s_mov_b32 s12, -1
	s_waitcnt vmcnt(1)
	v_cmp_lt_i32_e32 vcc_lo, -1, v1
	v_cndmask_b32_e64 v4, -1, 0x80000000, vcc_lo
	s_and_b32 vcc_lo, exec_lo, s11
	v_cmp_gt_u32_e64 s11, 0x103, v0
	s_delay_alu instid0(VALU_DEP_2)
	v_xor_b32_e32 v19, v4, v1
	s_cbranch_vccnz .LBB48_21
; %bb.1:
	v_cmp_gt_u32_e64 s12, 0xde, v0
	v_cmp_gt_u32_e64 s13, 0xb9, v0
	;; [unrolled: 1-line block ×6, first 2 shown]
	s_waitcnt vmcnt(0)
	v_dual_mov_b32 v10, 0 :: v_dual_mov_b32 v3, v18
	v_mov_b32_e32 v2, v19
	s_sub_i32 s24, s23, s22
	s_branch .LBB48_3
.LBB48_2:                               ;   in Loop: Header=BB48_3 Depth=1
	s_barrier
	buffer_gl0_inv
	ds_store_b32 v1, v11
	s_waitcnt lgkmcnt(0)
	s_barrier
	buffer_gl0_inv
	ds_load_b32 v2, v14
	s_waitcnt lgkmcnt(0)
	s_barrier
	buffer_gl0_inv
	ds_store_b32 v1, v9
	s_waitcnt lgkmcnt(0)
	s_barrier
	buffer_gl0_inv
	ds_load_b32 v3, v14
	s_add_i32 s24, s24, -4
	s_waitcnt lgkmcnt(0)
	s_barrier
	buffer_gl0_inv
	s_cbranch_execz .LBB48_20
.LBB48_3:                               ; =>This Inner Loop Header: Depth=1
	s_delay_alu instid0(VALU_DEP_1)
	v_mov_b32_e32 v11, v2
	v_mov_b32_e32 v9, v3
	s_and_saveexec_b32 s25, s10
	s_cbranch_execz .LBB48_12
; %bb.4:                                ;   in Loop: Header=BB48_3 Depth=1
	ds_store_b32 v17, v10
	s_and_b32 exec_lo, exec_lo, s11
	s_cbranch_execz .LBB48_12
; %bb.5:                                ;   in Loop: Header=BB48_3 Depth=1
	ds_store_b32 v17, v10 offset:148
	s_and_b32 exec_lo, exec_lo, s12
	s_cbranch_execz .LBB48_12
; %bb.6:                                ;   in Loop: Header=BB48_3 Depth=1
	ds_store_b32 v17, v10 offset:296
	;; [unrolled: 4-line block ×5, first 2 shown]
	s_and_b32 exec_lo, exec_lo, s16
	s_cbranch_execz .LBB48_12
; %bb.10:                               ;   in Loop: Header=BB48_3 Depth=1
	ds_store_b32 v17, v10 offset:888
	s_and_b32 exec_lo, exec_lo, s17
	s_cbranch_execz .LBB48_12
; %bb.11:                               ;   in Loop: Header=BB48_3 Depth=1
	ds_store_b32 v17, v10 offset:1036
.LBB48_12:                              ;   in Loop: Header=BB48_3 Depth=1
	s_or_b32 exec_lo, exec_lo, s25
	v_cmp_ne_u32_e32 vcc_lo, 0x7fffffff, v11
	s_min_u32 s25, s24, 4
	v_cndmask_b32_e32 v1, 0x80000000, v11, vcc_lo
	s_delay_alu instid0(VALU_DEP_1) | instskip(NEXT) | instid1(VALU_DEP_1)
	v_lshrrev_b32_e32 v1, s22, v1
	v_bfe_u32 v1, v1, 0, s25
	s_delay_alu instid0(VALU_DEP_1) | instskip(SKIP_1) | instid1(VALU_DEP_2)
	v_and_b32_e32 v2, 7, v1
	v_lshrrev_b32_e32 v1, 3, v1
	v_mul_u32_u24_e32 v2, 37, v2
	s_delay_alu instid0(VALU_DEP_1) | instskip(NEXT) | instid1(VALU_DEP_1)
	v_add_lshl_u32 v2, v2, v0, 1
	v_add_lshl_u32 v12, v2, v1, 1
	ds_load_u16 v20, v12
	s_waitcnt lgkmcnt(0)
	v_add_nc_u16 v1, v20, 1
	ds_store_b16 v12, v1
	s_waitcnt lgkmcnt(0)
	s_barrier
	buffer_gl0_inv
	ds_load_2addr_b64 v[5:8], v13 offset1:1
	ds_load_2addr_b64 v[1:4], v13 offset0:2 offset1:3
	s_waitcnt lgkmcnt(1)
	v_add_nc_u32_e32 v21, v6, v5
	s_delay_alu instid0(VALU_DEP_1) | instskip(SKIP_1) | instid1(VALU_DEP_1)
	v_add3_u32 v21, v21, v7, v8
	s_waitcnt lgkmcnt(0)
	v_add3_u32 v21, v21, v1, v2
	s_delay_alu instid0(VALU_DEP_1) | instskip(NEXT) | instid1(VALU_DEP_1)
	v_add3_u32 v4, v21, v3, v4
	v_mov_b32_dpp v21, v4 row_shr:1 row_mask:0xf bank_mask:0xf
	s_delay_alu instid0(VALU_DEP_1) | instskip(NEXT) | instid1(VALU_DEP_1)
	v_cndmask_b32_e64 v21, v21, 0, s8
	v_add_nc_u32_e32 v4, v21, v4
	s_delay_alu instid0(VALU_DEP_1) | instskip(NEXT) | instid1(VALU_DEP_1)
	v_mov_b32_dpp v21, v4 row_shr:2 row_mask:0xf bank_mask:0xf
	v_cndmask_b32_e64 v21, 0, v21, s7
	s_delay_alu instid0(VALU_DEP_1) | instskip(NEXT) | instid1(VALU_DEP_1)
	v_add_nc_u32_e32 v4, v4, v21
	v_mov_b32_dpp v21, v4 row_shr:4 row_mask:0xf bank_mask:0xf
	s_delay_alu instid0(VALU_DEP_1) | instskip(NEXT) | instid1(VALU_DEP_1)
	v_cndmask_b32_e64 v21, 0, v21, s6
	v_add_nc_u32_e32 v4, v4, v21
	s_delay_alu instid0(VALU_DEP_1) | instskip(NEXT) | instid1(VALU_DEP_1)
	v_mov_b32_dpp v21, v4 row_shr:8 row_mask:0xf bank_mask:0xf
	v_cndmask_b32_e64 v21, 0, v21, s5
	s_delay_alu instid0(VALU_DEP_1) | instskip(SKIP_3) | instid1(VALU_DEP_1)
	v_add_nc_u32_e32 v4, v4, v21
	ds_swizzle_b32 v21, v4 offset:swizzle(BROADCAST,32,15)
	s_waitcnt lgkmcnt(0)
	v_cndmask_b32_e64 v21, v21, 0, s4
	v_add_nc_u32_e32 v4, v4, v21
	s_and_saveexec_b32 s25, s9
	s_cbranch_execz .LBB48_14
; %bb.13:                               ;   in Loop: Header=BB48_3 Depth=1
	ds_store_b32 v15, v4 offset:1184
.LBB48_14:                              ;   in Loop: Header=BB48_3 Depth=1
	s_or_b32 exec_lo, exec_lo, s25
	s_waitcnt lgkmcnt(0)
	s_barrier
	buffer_gl0_inv
	s_and_saveexec_b32 s25, s2
	s_cbranch_execz .LBB48_16
; %bb.15:                               ;   in Loop: Header=BB48_3 Depth=1
	ds_load_b32 v21, v14 offset:1184
	s_waitcnt lgkmcnt(0)
	v_mov_b32_dpp v22, v21 row_shr:1 row_mask:0xf bank_mask:0xf
	s_delay_alu instid0(VALU_DEP_1) | instskip(NEXT) | instid1(VALU_DEP_1)
	v_cndmask_b32_e64 v22, v22, 0, s3
	v_add_nc_u32_e32 v21, v22, v21
	ds_store_b32 v14, v21 offset:1184
.LBB48_16:                              ;   in Loop: Header=BB48_3 Depth=1
	s_or_b32 exec_lo, exec_lo, s25
	v_mov_b32_e32 v21, 0
	s_waitcnt lgkmcnt(0)
	s_barrier
	buffer_gl0_inv
	s_and_saveexec_b32 s25, s1
	s_cbranch_execz .LBB48_18
; %bb.17:                               ;   in Loop: Header=BB48_3 Depth=1
	ds_load_b32 v21, v15 offset:1180
.LBB48_18:                              ;   in Loop: Header=BB48_3 Depth=1
	s_or_b32 exec_lo, exec_lo, s25
	s_waitcnt lgkmcnt(0)
	v_add_nc_u32_e32 v4, v21, v4
	ds_load_b32 v22, v10 offset:1188
	s_add_i32 s22, s22, 4
	s_delay_alu instid0(SALU_CYCLE_1) | instskip(SKIP_3) | instid1(VALU_DEP_1)
	s_cmp_ge_u32 s22, s23
	ds_bpermute_b32 v4, v16, v4
	s_waitcnt lgkmcnt(0)
	v_cndmask_b32_e64 v4, v4, v21, s0
	v_lshl_add_u32 v4, v22, 16, v4
	s_delay_alu instid0(VALU_DEP_1) | instskip(NEXT) | instid1(VALU_DEP_1)
	v_add_nc_u32_e32 v5, v4, v5
	v_add_nc_u32_e32 v6, v5, v6
	s_delay_alu instid0(VALU_DEP_1) | instskip(NEXT) | instid1(VALU_DEP_1)
	v_add_nc_u32_e32 v7, v6, v7
	v_add_nc_u32_e32 v21, v7, v8
	;; [unrolled: 3-line block ×3, first 2 shown]
	s_delay_alu instid0(VALU_DEP_1)
	v_add_nc_u32_e32 v2, v1, v3
	ds_store_2addr_b64 v13, v[4:5], v[6:7] offset1:1
	ds_store_2addr_b64 v13, v[21:22], v[1:2] offset0:2 offset1:3
	s_waitcnt lgkmcnt(0)
	s_barrier
	buffer_gl0_inv
	ds_load_u16 v1, v12
	v_and_b32_e32 v2, 0xffff, v20
	s_waitcnt lgkmcnt(0)
	s_delay_alu instid0(VALU_DEP_1) | instskip(NEXT) | instid1(VALU_DEP_1)
	v_lshlrev_b32_e32 v2, 2, v2
	v_lshl_add_u32 v1, v1, 2, v2
	s_cbranch_scc0 .LBB48_2
; %bb.19:
                                        ; implicit-def: $vgpr2
                                        ; implicit-def: $vgpr3
                                        ; implicit-def: $sgpr24
.LBB48_20:
	s_barrier
	buffer_gl0_inv
	ds_store_b32 v1, v11
	s_waitcnt lgkmcnt(0)
	s_barrier
	buffer_gl0_inv
	ds_load_b32 v2, v14
	s_mov_b32 s12, 0
	s_waitcnt lgkmcnt(0)
	s_barrier
	buffer_gl0_inv
	ds_store_b32 v1, v9
	s_waitcnt lgkmcnt(0)
	s_barrier
	s_branch .LBB48_22
.LBB48_21:
                                        ; implicit-def: $vgpr2
.LBB48_22:
	v_add_co_u32 v9, s11, s18, v17
	s_delay_alu instid0(VALU_DEP_1) | instskip(SKIP_1) | instid1(VALU_DEP_1)
	v_add_co_ci_u32_e64 v10, null, s19, 0, s11
	v_add_co_u32 v11, s11, s20, v17
	v_add_co_ci_u32_e64 v12, null, s21, 0, s11
	s_and_b32 vcc_lo, exec_lo, s12
	s_cbranch_vccz .LBB48_144
; %bb.23:
	s_and_saveexec_b32 s11, s10
	s_cbranch_execz .LBB48_32
; %bb.24:
	v_mov_b32_e32 v1, 0
	v_cmp_gt_u32_e32 vcc_lo, 0x103, v0
	ds_store_b32 v14, v1
	s_and_b32 exec_lo, exec_lo, vcc_lo
	s_cbranch_execz .LBB48_32
; %bb.25:
	v_cmp_gt_u32_e32 vcc_lo, 0xde, v0
	ds_store_b32 v14, v1 offset:148
	s_and_b32 exec_lo, exec_lo, vcc_lo
	s_cbranch_execz .LBB48_32
; %bb.26:
	v_mov_b32_e32 v1, 0
	v_cmp_gt_u32_e32 vcc_lo, 0xb9, v0
	ds_store_b32 v14, v1 offset:296
	s_and_b32 exec_lo, exec_lo, vcc_lo
	s_cbranch_execz .LBB48_32
; %bb.27:
	v_cmp_gt_u32_e32 vcc_lo, 0x94, v0
	ds_store_b32 v14, v1 offset:444
	s_and_b32 exec_lo, exec_lo, vcc_lo
	s_cbranch_execz .LBB48_32
; %bb.28:
	v_mov_b32_e32 v1, 0
	v_cmp_gt_u32_e32 vcc_lo, 0x6f, v0
	ds_store_b32 v14, v1 offset:592
	s_and_b32 exec_lo, exec_lo, vcc_lo
	s_cbranch_execz .LBB48_32
; %bb.29:
	v_cmp_gt_u32_e32 vcc_lo, 0x4a, v0
	ds_store_b32 v14, v1 offset:740
	s_and_b32 exec_lo, exec_lo, vcc_lo
	s_cbranch_execz .LBB48_32
; %bb.30:
	v_mov_b32_e32 v1, 0
	v_cmp_gt_u32_e32 vcc_lo, 37, v0
	ds_store_b32 v14, v1 offset:888
	s_and_b32 exec_lo, exec_lo, vcc_lo
	s_cbranch_execz .LBB48_32
; %bb.31:
	ds_store_b32 v14, v1 offset:1036
.LBB48_32:
	s_or_b32 exec_lo, exec_lo, s11
	v_cmp_ne_u32_e32 vcc_lo, 0x7fffffff, v19
	v_cndmask_b32_e32 v1, 0x80000000, v19, vcc_lo
	s_delay_alu instid0(VALU_DEP_1) | instskip(SKIP_1) | instid1(VALU_DEP_2)
	v_and_b32_e32 v2, 7, v1
	v_lshrrev_b32_e32 v1, 2, v1
	v_mad_u32_u24 v2, v2, 37, v0
	s_delay_alu instid0(VALU_DEP_2) | instskip(NEXT) | instid1(VALU_DEP_1)
	v_and_b32_e32 v1, 2, v1
	v_lshl_or_b32 v20, v2, 2, v1
	ds_load_u16 v21, v20
	s_waitcnt lgkmcnt(0)
	v_add_nc_u16 v1, v21, 1
	ds_store_b16 v20, v1
	s_waitcnt vmcnt(0) lgkmcnt(0)
	s_barrier
	buffer_gl0_inv
	ds_load_2addr_b64 v[5:8], v13 offset1:1
	ds_load_2addr_b64 v[1:4], v13 offset0:2 offset1:3
	s_waitcnt lgkmcnt(1)
	v_add_nc_u32_e32 v22, v6, v5
	s_delay_alu instid0(VALU_DEP_1) | instskip(SKIP_1) | instid1(VALU_DEP_1)
	v_add3_u32 v22, v22, v7, v8
	s_waitcnt lgkmcnt(0)
	v_add3_u32 v22, v22, v1, v2
	s_delay_alu instid0(VALU_DEP_1) | instskip(NEXT) | instid1(VALU_DEP_1)
	v_add3_u32 v4, v22, v3, v4
	v_mov_b32_dpp v22, v4 row_shr:1 row_mask:0xf bank_mask:0xf
	s_delay_alu instid0(VALU_DEP_1) | instskip(NEXT) | instid1(VALU_DEP_1)
	v_cndmask_b32_e64 v22, v22, 0, s8
	v_add_nc_u32_e32 v4, v22, v4
	s_delay_alu instid0(VALU_DEP_1) | instskip(NEXT) | instid1(VALU_DEP_1)
	v_mov_b32_dpp v22, v4 row_shr:2 row_mask:0xf bank_mask:0xf
	v_cndmask_b32_e64 v22, 0, v22, s7
	s_delay_alu instid0(VALU_DEP_1) | instskip(NEXT) | instid1(VALU_DEP_1)
	v_add_nc_u32_e32 v4, v4, v22
	v_mov_b32_dpp v22, v4 row_shr:4 row_mask:0xf bank_mask:0xf
	s_delay_alu instid0(VALU_DEP_1) | instskip(NEXT) | instid1(VALU_DEP_1)
	v_cndmask_b32_e64 v22, 0, v22, s6
	v_add_nc_u32_e32 v4, v4, v22
	s_delay_alu instid0(VALU_DEP_1) | instskip(NEXT) | instid1(VALU_DEP_1)
	v_mov_b32_dpp v22, v4 row_shr:8 row_mask:0xf bank_mask:0xf
	v_cndmask_b32_e64 v22, 0, v22, s5
	s_delay_alu instid0(VALU_DEP_1) | instskip(SKIP_3) | instid1(VALU_DEP_1)
	v_add_nc_u32_e32 v4, v4, v22
	ds_swizzle_b32 v22, v4 offset:swizzle(BROADCAST,32,15)
	s_waitcnt lgkmcnt(0)
	v_cndmask_b32_e64 v22, v22, 0, s4
	v_add_nc_u32_e32 v4, v4, v22
	s_and_saveexec_b32 s11, s9
	s_cbranch_execz .LBB48_34
; %bb.33:
	ds_store_b32 v15, v4 offset:1184
.LBB48_34:
	s_or_b32 exec_lo, exec_lo, s11
	s_waitcnt lgkmcnt(0)
	s_barrier
	buffer_gl0_inv
	s_and_saveexec_b32 s11, s2
	s_cbranch_execz .LBB48_36
; %bb.35:
	ds_load_b32 v22, v14 offset:1184
	s_waitcnt lgkmcnt(0)
	v_mov_b32_dpp v23, v22 row_shr:1 row_mask:0xf bank_mask:0xf
	s_delay_alu instid0(VALU_DEP_1) | instskip(NEXT) | instid1(VALU_DEP_1)
	v_cndmask_b32_e64 v23, v23, 0, s3
	v_add_nc_u32_e32 v22, v23, v22
	ds_store_b32 v14, v22 offset:1184
.LBB48_36:
	s_or_b32 exec_lo, exec_lo, s11
	v_dual_mov_b32 v22, 0 :: v_dual_mov_b32 v23, 0
	s_waitcnt lgkmcnt(0)
	s_barrier
	buffer_gl0_inv
	s_and_saveexec_b32 s11, s1
	s_cbranch_execz .LBB48_38
; %bb.37:
	ds_load_b32 v23, v15 offset:1180
.LBB48_38:
	s_or_b32 exec_lo, exec_lo, s11
	s_waitcnt lgkmcnt(0)
	v_add_nc_u32_e32 v4, v23, v4
	ds_load_b32 v22, v22 offset:1188
	ds_bpermute_b32 v4, v16, v4
	s_waitcnt lgkmcnt(0)
	v_cndmask_b32_e64 v4, v4, v23, s0
	s_delay_alu instid0(VALU_DEP_1) | instskip(NEXT) | instid1(VALU_DEP_1)
	v_lshl_add_u32 v4, v22, 16, v4
	v_add_nc_u32_e32 v5, v4, v5
	s_delay_alu instid0(VALU_DEP_1) | instskip(NEXT) | instid1(VALU_DEP_1)
	v_add_nc_u32_e32 v6, v5, v6
	v_add_nc_u32_e32 v7, v6, v7
	s_delay_alu instid0(VALU_DEP_1) | instskip(NEXT) | instid1(VALU_DEP_1)
	v_add_nc_u32_e32 v22, v7, v8
	;; [unrolled: 3-line block ×3, first 2 shown]
	v_add_nc_u32_e32 v2, v1, v3
	ds_store_2addr_b64 v13, v[4:5], v[6:7] offset1:1
	ds_store_2addr_b64 v13, v[22:23], v[1:2] offset0:2 offset1:3
	s_waitcnt lgkmcnt(0)
	s_barrier
	buffer_gl0_inv
	ds_load_u16 v1, v20
	v_and_b32_e32 v2, 0xffff, v21
	s_waitcnt lgkmcnt(0)
	s_barrier
	buffer_gl0_inv
	v_lshlrev_b32_e32 v2, 2, v2
	s_delay_alu instid0(VALU_DEP_1)
	v_lshl_add_u32 v1, v1, 2, v2
	ds_store_b32 v1, v19
	s_waitcnt lgkmcnt(0)
	s_barrier
	buffer_gl0_inv
	ds_load_b32 v19, v14
	s_waitcnt lgkmcnt(0)
	s_barrier
	buffer_gl0_inv
	ds_store_b32 v1, v18
	s_waitcnt lgkmcnt(0)
	s_barrier
	buffer_gl0_inv
	ds_load_b32 v18, v14
	s_waitcnt lgkmcnt(0)
	s_barrier
	buffer_gl0_inv
	s_and_saveexec_b32 s11, s10
	s_cbranch_execz .LBB48_47
; %bb.39:
	v_mov_b32_e32 v1, 0
	v_cmp_gt_u32_e32 vcc_lo, 0x103, v0
	ds_store_b32 v17, v1
	s_and_b32 exec_lo, exec_lo, vcc_lo
	s_cbranch_execz .LBB48_47
; %bb.40:
	v_cmp_gt_u32_e32 vcc_lo, 0xde, v0
	ds_store_b32 v17, v1 offset:148
	s_and_b32 exec_lo, exec_lo, vcc_lo
	s_cbranch_execz .LBB48_47
; %bb.41:
	v_mov_b32_e32 v1, 0
	v_cmp_gt_u32_e32 vcc_lo, 0xb9, v0
	ds_store_b32 v17, v1 offset:296
	s_and_b32 exec_lo, exec_lo, vcc_lo
	s_cbranch_execz .LBB48_47
; %bb.42:
	v_cmp_gt_u32_e32 vcc_lo, 0x94, v0
	ds_store_b32 v17, v1 offset:444
	s_and_b32 exec_lo, exec_lo, vcc_lo
	s_cbranch_execz .LBB48_47
; %bb.43:
	v_mov_b32_e32 v1, 0
	v_cmp_gt_u32_e32 vcc_lo, 0x6f, v0
	ds_store_b32 v17, v1 offset:592
	;; [unrolled: 11-line block ×3, first 2 shown]
	s_and_b32 exec_lo, exec_lo, vcc_lo
	s_cbranch_execz .LBB48_47
; %bb.46:
	ds_store_b32 v17, v1 offset:1036
.LBB48_47:
	s_or_b32 exec_lo, exec_lo, s11
	v_lshrrev_b32_e32 v1, 4, v19
	v_cmp_ne_u32_e32 vcc_lo, 0x7fffffff, v19
	s_delay_alu instid0(VALU_DEP_2) | instskip(NEXT) | instid1(VALU_DEP_1)
	v_cndmask_b32_e32 v1, 0x8000000, v1, vcc_lo
	v_and_b32_e32 v2, 7, v1
	v_lshrrev_b32_e32 v1, 2, v1
	s_delay_alu instid0(VALU_DEP_2) | instskip(NEXT) | instid1(VALU_DEP_2)
	v_mad_u32_u24 v2, v2, 37, v0
	v_and_b32_e32 v1, 2, v1
	s_delay_alu instid0(VALU_DEP_1)
	v_lshl_or_b32 v20, v2, 2, v1
	ds_load_u16 v21, v20
	s_waitcnt lgkmcnt(0)
	v_add_nc_u16 v1, v21, 1
	ds_store_b16 v20, v1
	s_waitcnt lgkmcnt(0)
	s_barrier
	buffer_gl0_inv
	ds_load_2addr_b64 v[5:8], v13 offset1:1
	ds_load_2addr_b64 v[1:4], v13 offset0:2 offset1:3
	s_waitcnt lgkmcnt(1)
	v_add_nc_u32_e32 v22, v6, v5
	s_delay_alu instid0(VALU_DEP_1) | instskip(SKIP_1) | instid1(VALU_DEP_1)
	v_add3_u32 v22, v22, v7, v8
	s_waitcnt lgkmcnt(0)
	v_add3_u32 v22, v22, v1, v2
	s_delay_alu instid0(VALU_DEP_1) | instskip(NEXT) | instid1(VALU_DEP_1)
	v_add3_u32 v4, v22, v3, v4
	v_mov_b32_dpp v22, v4 row_shr:1 row_mask:0xf bank_mask:0xf
	s_delay_alu instid0(VALU_DEP_1) | instskip(NEXT) | instid1(VALU_DEP_1)
	v_cndmask_b32_e64 v22, v22, 0, s8
	v_add_nc_u32_e32 v4, v22, v4
	s_delay_alu instid0(VALU_DEP_1) | instskip(NEXT) | instid1(VALU_DEP_1)
	v_mov_b32_dpp v22, v4 row_shr:2 row_mask:0xf bank_mask:0xf
	v_cndmask_b32_e64 v22, 0, v22, s7
	s_delay_alu instid0(VALU_DEP_1) | instskip(NEXT) | instid1(VALU_DEP_1)
	v_add_nc_u32_e32 v4, v4, v22
	v_mov_b32_dpp v22, v4 row_shr:4 row_mask:0xf bank_mask:0xf
	s_delay_alu instid0(VALU_DEP_1) | instskip(NEXT) | instid1(VALU_DEP_1)
	v_cndmask_b32_e64 v22, 0, v22, s6
	v_add_nc_u32_e32 v4, v4, v22
	s_delay_alu instid0(VALU_DEP_1) | instskip(NEXT) | instid1(VALU_DEP_1)
	v_mov_b32_dpp v22, v4 row_shr:8 row_mask:0xf bank_mask:0xf
	v_cndmask_b32_e64 v22, 0, v22, s5
	s_delay_alu instid0(VALU_DEP_1) | instskip(SKIP_3) | instid1(VALU_DEP_1)
	v_add_nc_u32_e32 v4, v4, v22
	ds_swizzle_b32 v22, v4 offset:swizzle(BROADCAST,32,15)
	s_waitcnt lgkmcnt(0)
	v_cndmask_b32_e64 v22, v22, 0, s4
	v_add_nc_u32_e32 v4, v4, v22
	s_and_saveexec_b32 s11, s9
	s_cbranch_execz .LBB48_49
; %bb.48:
	ds_store_b32 v15, v4 offset:1184
.LBB48_49:
	s_or_b32 exec_lo, exec_lo, s11
	s_waitcnt lgkmcnt(0)
	s_barrier
	buffer_gl0_inv
	s_and_saveexec_b32 s11, s2
	s_cbranch_execz .LBB48_51
; %bb.50:
	ds_load_b32 v22, v14 offset:1184
	s_waitcnt lgkmcnt(0)
	v_mov_b32_dpp v23, v22 row_shr:1 row_mask:0xf bank_mask:0xf
	s_delay_alu instid0(VALU_DEP_1) | instskip(NEXT) | instid1(VALU_DEP_1)
	v_cndmask_b32_e64 v23, v23, 0, s3
	v_add_nc_u32_e32 v22, v23, v22
	ds_store_b32 v14, v22 offset:1184
.LBB48_51:
	s_or_b32 exec_lo, exec_lo, s11
	v_dual_mov_b32 v22, 0 :: v_dual_mov_b32 v23, 0
	s_waitcnt lgkmcnt(0)
	s_barrier
	buffer_gl0_inv
	s_and_saveexec_b32 s11, s1
	s_cbranch_execz .LBB48_53
; %bb.52:
	ds_load_b32 v23, v15 offset:1180
.LBB48_53:
	s_or_b32 exec_lo, exec_lo, s11
	s_waitcnt lgkmcnt(0)
	v_add_nc_u32_e32 v4, v23, v4
	ds_load_b32 v22, v22 offset:1188
	ds_bpermute_b32 v4, v16, v4
	s_waitcnt lgkmcnt(0)
	v_cndmask_b32_e64 v4, v4, v23, s0
	s_delay_alu instid0(VALU_DEP_1) | instskip(NEXT) | instid1(VALU_DEP_1)
	v_lshl_add_u32 v4, v22, 16, v4
	v_add_nc_u32_e32 v5, v4, v5
	s_delay_alu instid0(VALU_DEP_1) | instskip(NEXT) | instid1(VALU_DEP_1)
	v_add_nc_u32_e32 v6, v5, v6
	v_add_nc_u32_e32 v7, v6, v7
	s_delay_alu instid0(VALU_DEP_1) | instskip(NEXT) | instid1(VALU_DEP_1)
	v_add_nc_u32_e32 v22, v7, v8
	;; [unrolled: 3-line block ×3, first 2 shown]
	v_add_nc_u32_e32 v2, v1, v3
	ds_store_2addr_b64 v13, v[4:5], v[6:7] offset1:1
	ds_store_2addr_b64 v13, v[22:23], v[1:2] offset0:2 offset1:3
	s_waitcnt lgkmcnt(0)
	s_barrier
	buffer_gl0_inv
	ds_load_u16 v1, v20
	v_and_b32_e32 v2, 0xffff, v21
	s_waitcnt lgkmcnt(0)
	s_barrier
	buffer_gl0_inv
	v_lshlrev_b32_e32 v2, 2, v2
	s_delay_alu instid0(VALU_DEP_1)
	v_lshl_add_u32 v1, v1, 2, v2
	ds_store_b32 v1, v19
	s_waitcnt lgkmcnt(0)
	s_barrier
	buffer_gl0_inv
	ds_load_b32 v19, v14
	s_waitcnt lgkmcnt(0)
	s_barrier
	buffer_gl0_inv
	ds_store_b32 v1, v18
	s_waitcnt lgkmcnt(0)
	s_barrier
	buffer_gl0_inv
	ds_load_b32 v18, v14
	s_waitcnt lgkmcnt(0)
	s_barrier
	buffer_gl0_inv
	s_and_saveexec_b32 s11, s10
	s_cbranch_execz .LBB48_62
; %bb.54:
	v_mov_b32_e32 v1, 0
	v_cmp_gt_u32_e32 vcc_lo, 0x103, v0
	ds_store_b32 v17, v1
	s_and_b32 exec_lo, exec_lo, vcc_lo
	s_cbranch_execz .LBB48_62
; %bb.55:
	v_cmp_gt_u32_e32 vcc_lo, 0xde, v0
	ds_store_b32 v17, v1 offset:148
	s_and_b32 exec_lo, exec_lo, vcc_lo
	s_cbranch_execz .LBB48_62
; %bb.56:
	v_mov_b32_e32 v1, 0
	v_cmp_gt_u32_e32 vcc_lo, 0xb9, v0
	ds_store_b32 v17, v1 offset:296
	s_and_b32 exec_lo, exec_lo, vcc_lo
	s_cbranch_execz .LBB48_62
; %bb.57:
	v_cmp_gt_u32_e32 vcc_lo, 0x94, v0
	ds_store_b32 v17, v1 offset:444
	s_and_b32 exec_lo, exec_lo, vcc_lo
	s_cbranch_execz .LBB48_62
; %bb.58:
	v_mov_b32_e32 v1, 0
	v_cmp_gt_u32_e32 vcc_lo, 0x6f, v0
	ds_store_b32 v17, v1 offset:592
	s_and_b32 exec_lo, exec_lo, vcc_lo
	s_cbranch_execz .LBB48_62
; %bb.59:
	v_cmp_gt_u32_e32 vcc_lo, 0x4a, v0
	ds_store_b32 v17, v1 offset:740
	s_and_b32 exec_lo, exec_lo, vcc_lo
	s_cbranch_execz .LBB48_62
; %bb.60:
	v_mov_b32_e32 v1, 0
	v_cmp_gt_u32_e32 vcc_lo, 37, v0
	ds_store_b32 v17, v1 offset:888
	s_and_b32 exec_lo, exec_lo, vcc_lo
	s_cbranch_execz .LBB48_62
; %bb.61:
	ds_store_b32 v17, v1 offset:1036
.LBB48_62:
	s_or_b32 exec_lo, exec_lo, s11
	v_lshrrev_b32_e32 v1, 8, v19
	v_cmp_ne_u32_e32 vcc_lo, 0x7fffffff, v19
	s_delay_alu instid0(VALU_DEP_2) | instskip(NEXT) | instid1(VALU_DEP_1)
	v_cndmask_b32_e32 v1, 0x800000, v1, vcc_lo
	v_and_b32_e32 v2, 7, v1
	v_lshrrev_b32_e32 v1, 2, v1
	s_delay_alu instid0(VALU_DEP_2) | instskip(NEXT) | instid1(VALU_DEP_2)
	v_mad_u32_u24 v2, v2, 37, v0
	v_and_b32_e32 v1, 2, v1
	s_delay_alu instid0(VALU_DEP_1)
	v_lshl_or_b32 v20, v2, 2, v1
	ds_load_u16 v21, v20
	s_waitcnt lgkmcnt(0)
	v_add_nc_u16 v1, v21, 1
	ds_store_b16 v20, v1
	s_waitcnt lgkmcnt(0)
	s_barrier
	buffer_gl0_inv
	ds_load_2addr_b64 v[5:8], v13 offset1:1
	ds_load_2addr_b64 v[1:4], v13 offset0:2 offset1:3
	s_waitcnt lgkmcnt(1)
	v_add_nc_u32_e32 v22, v6, v5
	s_delay_alu instid0(VALU_DEP_1) | instskip(SKIP_1) | instid1(VALU_DEP_1)
	v_add3_u32 v22, v22, v7, v8
	s_waitcnt lgkmcnt(0)
	v_add3_u32 v22, v22, v1, v2
	s_delay_alu instid0(VALU_DEP_1) | instskip(NEXT) | instid1(VALU_DEP_1)
	v_add3_u32 v4, v22, v3, v4
	v_mov_b32_dpp v22, v4 row_shr:1 row_mask:0xf bank_mask:0xf
	s_delay_alu instid0(VALU_DEP_1) | instskip(NEXT) | instid1(VALU_DEP_1)
	v_cndmask_b32_e64 v22, v22, 0, s8
	v_add_nc_u32_e32 v4, v22, v4
	s_delay_alu instid0(VALU_DEP_1) | instskip(NEXT) | instid1(VALU_DEP_1)
	v_mov_b32_dpp v22, v4 row_shr:2 row_mask:0xf bank_mask:0xf
	v_cndmask_b32_e64 v22, 0, v22, s7
	s_delay_alu instid0(VALU_DEP_1) | instskip(NEXT) | instid1(VALU_DEP_1)
	v_add_nc_u32_e32 v4, v4, v22
	v_mov_b32_dpp v22, v4 row_shr:4 row_mask:0xf bank_mask:0xf
	s_delay_alu instid0(VALU_DEP_1) | instskip(NEXT) | instid1(VALU_DEP_1)
	v_cndmask_b32_e64 v22, 0, v22, s6
	v_add_nc_u32_e32 v4, v4, v22
	s_delay_alu instid0(VALU_DEP_1) | instskip(NEXT) | instid1(VALU_DEP_1)
	v_mov_b32_dpp v22, v4 row_shr:8 row_mask:0xf bank_mask:0xf
	v_cndmask_b32_e64 v22, 0, v22, s5
	s_delay_alu instid0(VALU_DEP_1) | instskip(SKIP_3) | instid1(VALU_DEP_1)
	v_add_nc_u32_e32 v4, v4, v22
	ds_swizzle_b32 v22, v4 offset:swizzle(BROADCAST,32,15)
	s_waitcnt lgkmcnt(0)
	v_cndmask_b32_e64 v22, v22, 0, s4
	v_add_nc_u32_e32 v4, v4, v22
	s_and_saveexec_b32 s11, s9
	s_cbranch_execz .LBB48_64
; %bb.63:
	ds_store_b32 v15, v4 offset:1184
.LBB48_64:
	s_or_b32 exec_lo, exec_lo, s11
	s_waitcnt lgkmcnt(0)
	s_barrier
	buffer_gl0_inv
	s_and_saveexec_b32 s11, s2
	s_cbranch_execz .LBB48_66
; %bb.65:
	ds_load_b32 v22, v14 offset:1184
	s_waitcnt lgkmcnt(0)
	v_mov_b32_dpp v23, v22 row_shr:1 row_mask:0xf bank_mask:0xf
	s_delay_alu instid0(VALU_DEP_1) | instskip(NEXT) | instid1(VALU_DEP_1)
	v_cndmask_b32_e64 v23, v23, 0, s3
	v_add_nc_u32_e32 v22, v23, v22
	ds_store_b32 v14, v22 offset:1184
.LBB48_66:
	s_or_b32 exec_lo, exec_lo, s11
	v_dual_mov_b32 v22, 0 :: v_dual_mov_b32 v23, 0
	s_waitcnt lgkmcnt(0)
	s_barrier
	buffer_gl0_inv
	s_and_saveexec_b32 s11, s1
	s_cbranch_execz .LBB48_68
; %bb.67:
	ds_load_b32 v23, v15 offset:1180
.LBB48_68:
	s_or_b32 exec_lo, exec_lo, s11
	s_waitcnt lgkmcnt(0)
	v_add_nc_u32_e32 v4, v23, v4
	ds_load_b32 v22, v22 offset:1188
	ds_bpermute_b32 v4, v16, v4
	s_waitcnt lgkmcnt(0)
	v_cndmask_b32_e64 v4, v4, v23, s0
	s_delay_alu instid0(VALU_DEP_1) | instskip(NEXT) | instid1(VALU_DEP_1)
	v_lshl_add_u32 v4, v22, 16, v4
	v_add_nc_u32_e32 v5, v4, v5
	s_delay_alu instid0(VALU_DEP_1) | instskip(NEXT) | instid1(VALU_DEP_1)
	v_add_nc_u32_e32 v6, v5, v6
	v_add_nc_u32_e32 v7, v6, v7
	s_delay_alu instid0(VALU_DEP_1) | instskip(NEXT) | instid1(VALU_DEP_1)
	v_add_nc_u32_e32 v22, v7, v8
	;; [unrolled: 3-line block ×3, first 2 shown]
	v_add_nc_u32_e32 v2, v1, v3
	ds_store_2addr_b64 v13, v[4:5], v[6:7] offset1:1
	ds_store_2addr_b64 v13, v[22:23], v[1:2] offset0:2 offset1:3
	s_waitcnt lgkmcnt(0)
	s_barrier
	buffer_gl0_inv
	ds_load_u16 v1, v20
	v_and_b32_e32 v2, 0xffff, v21
	s_waitcnt lgkmcnt(0)
	s_barrier
	buffer_gl0_inv
	v_lshlrev_b32_e32 v2, 2, v2
	s_delay_alu instid0(VALU_DEP_1)
	v_lshl_add_u32 v1, v1, 2, v2
	ds_store_b32 v1, v19
	s_waitcnt lgkmcnt(0)
	s_barrier
	buffer_gl0_inv
	ds_load_b32 v19, v14
	s_waitcnt lgkmcnt(0)
	s_barrier
	buffer_gl0_inv
	ds_store_b32 v1, v18
	s_waitcnt lgkmcnt(0)
	s_barrier
	buffer_gl0_inv
	ds_load_b32 v18, v14
	s_waitcnt lgkmcnt(0)
	s_barrier
	buffer_gl0_inv
	s_and_saveexec_b32 s11, s10
	s_cbranch_execz .LBB48_77
; %bb.69:
	v_mov_b32_e32 v1, 0
	v_cmp_gt_u32_e32 vcc_lo, 0x103, v0
	ds_store_b32 v17, v1
	s_and_b32 exec_lo, exec_lo, vcc_lo
	s_cbranch_execz .LBB48_77
; %bb.70:
	v_cmp_gt_u32_e32 vcc_lo, 0xde, v0
	ds_store_b32 v17, v1 offset:148
	s_and_b32 exec_lo, exec_lo, vcc_lo
	s_cbranch_execz .LBB48_77
; %bb.71:
	v_mov_b32_e32 v1, 0
	v_cmp_gt_u32_e32 vcc_lo, 0xb9, v0
	ds_store_b32 v17, v1 offset:296
	s_and_b32 exec_lo, exec_lo, vcc_lo
	s_cbranch_execz .LBB48_77
; %bb.72:
	v_cmp_gt_u32_e32 vcc_lo, 0x94, v0
	ds_store_b32 v17, v1 offset:444
	s_and_b32 exec_lo, exec_lo, vcc_lo
	s_cbranch_execz .LBB48_77
; %bb.73:
	v_mov_b32_e32 v1, 0
	v_cmp_gt_u32_e32 vcc_lo, 0x6f, v0
	ds_store_b32 v17, v1 offset:592
	;; [unrolled: 11-line block ×3, first 2 shown]
	s_and_b32 exec_lo, exec_lo, vcc_lo
	s_cbranch_execz .LBB48_77
; %bb.76:
	ds_store_b32 v17, v1 offset:1036
.LBB48_77:
	s_or_b32 exec_lo, exec_lo, s11
	v_lshrrev_b32_e32 v1, 12, v19
	v_cmp_ne_u32_e32 vcc_lo, 0x7fffffff, v19
	s_delay_alu instid0(VALU_DEP_2) | instskip(NEXT) | instid1(VALU_DEP_1)
	v_cndmask_b32_e32 v1, 0x80000, v1, vcc_lo
	v_and_b32_e32 v2, 7, v1
	v_lshrrev_b32_e32 v1, 2, v1
	s_delay_alu instid0(VALU_DEP_2) | instskip(NEXT) | instid1(VALU_DEP_2)
	v_mad_u32_u24 v2, v2, 37, v0
	v_and_b32_e32 v1, 2, v1
	s_delay_alu instid0(VALU_DEP_1)
	v_lshl_or_b32 v20, v2, 2, v1
	ds_load_u16 v21, v20
	s_waitcnt lgkmcnt(0)
	v_add_nc_u16 v1, v21, 1
	ds_store_b16 v20, v1
	s_waitcnt lgkmcnt(0)
	s_barrier
	buffer_gl0_inv
	ds_load_2addr_b64 v[5:8], v13 offset1:1
	ds_load_2addr_b64 v[1:4], v13 offset0:2 offset1:3
	s_waitcnt lgkmcnt(1)
	v_add_nc_u32_e32 v22, v6, v5
	s_delay_alu instid0(VALU_DEP_1) | instskip(SKIP_1) | instid1(VALU_DEP_1)
	v_add3_u32 v22, v22, v7, v8
	s_waitcnt lgkmcnt(0)
	v_add3_u32 v22, v22, v1, v2
	s_delay_alu instid0(VALU_DEP_1) | instskip(NEXT) | instid1(VALU_DEP_1)
	v_add3_u32 v4, v22, v3, v4
	v_mov_b32_dpp v22, v4 row_shr:1 row_mask:0xf bank_mask:0xf
	s_delay_alu instid0(VALU_DEP_1) | instskip(NEXT) | instid1(VALU_DEP_1)
	v_cndmask_b32_e64 v22, v22, 0, s8
	v_add_nc_u32_e32 v4, v22, v4
	s_delay_alu instid0(VALU_DEP_1) | instskip(NEXT) | instid1(VALU_DEP_1)
	v_mov_b32_dpp v22, v4 row_shr:2 row_mask:0xf bank_mask:0xf
	v_cndmask_b32_e64 v22, 0, v22, s7
	s_delay_alu instid0(VALU_DEP_1) | instskip(NEXT) | instid1(VALU_DEP_1)
	v_add_nc_u32_e32 v4, v4, v22
	v_mov_b32_dpp v22, v4 row_shr:4 row_mask:0xf bank_mask:0xf
	s_delay_alu instid0(VALU_DEP_1) | instskip(NEXT) | instid1(VALU_DEP_1)
	v_cndmask_b32_e64 v22, 0, v22, s6
	v_add_nc_u32_e32 v4, v4, v22
	s_delay_alu instid0(VALU_DEP_1) | instskip(NEXT) | instid1(VALU_DEP_1)
	v_mov_b32_dpp v22, v4 row_shr:8 row_mask:0xf bank_mask:0xf
	v_cndmask_b32_e64 v22, 0, v22, s5
	s_delay_alu instid0(VALU_DEP_1) | instskip(SKIP_3) | instid1(VALU_DEP_1)
	v_add_nc_u32_e32 v4, v4, v22
	ds_swizzle_b32 v22, v4 offset:swizzle(BROADCAST,32,15)
	s_waitcnt lgkmcnt(0)
	v_cndmask_b32_e64 v22, v22, 0, s4
	v_add_nc_u32_e32 v4, v4, v22
	s_and_saveexec_b32 s11, s9
	s_cbranch_execz .LBB48_79
; %bb.78:
	ds_store_b32 v15, v4 offset:1184
.LBB48_79:
	s_or_b32 exec_lo, exec_lo, s11
	s_waitcnt lgkmcnt(0)
	s_barrier
	buffer_gl0_inv
	s_and_saveexec_b32 s11, s2
	s_cbranch_execz .LBB48_81
; %bb.80:
	ds_load_b32 v22, v14 offset:1184
	s_waitcnt lgkmcnt(0)
	v_mov_b32_dpp v23, v22 row_shr:1 row_mask:0xf bank_mask:0xf
	s_delay_alu instid0(VALU_DEP_1) | instskip(NEXT) | instid1(VALU_DEP_1)
	v_cndmask_b32_e64 v23, v23, 0, s3
	v_add_nc_u32_e32 v22, v23, v22
	ds_store_b32 v14, v22 offset:1184
.LBB48_81:
	s_or_b32 exec_lo, exec_lo, s11
	v_dual_mov_b32 v22, 0 :: v_dual_mov_b32 v23, 0
	s_waitcnt lgkmcnt(0)
	s_barrier
	buffer_gl0_inv
	s_and_saveexec_b32 s11, s1
	s_cbranch_execz .LBB48_83
; %bb.82:
	ds_load_b32 v23, v15 offset:1180
.LBB48_83:
	s_or_b32 exec_lo, exec_lo, s11
	s_waitcnt lgkmcnt(0)
	v_add_nc_u32_e32 v4, v23, v4
	ds_load_b32 v22, v22 offset:1188
	ds_bpermute_b32 v4, v16, v4
	s_waitcnt lgkmcnt(0)
	v_cndmask_b32_e64 v4, v4, v23, s0
	s_delay_alu instid0(VALU_DEP_1) | instskip(NEXT) | instid1(VALU_DEP_1)
	v_lshl_add_u32 v4, v22, 16, v4
	v_add_nc_u32_e32 v5, v4, v5
	s_delay_alu instid0(VALU_DEP_1) | instskip(NEXT) | instid1(VALU_DEP_1)
	v_add_nc_u32_e32 v6, v5, v6
	v_add_nc_u32_e32 v7, v6, v7
	s_delay_alu instid0(VALU_DEP_1) | instskip(NEXT) | instid1(VALU_DEP_1)
	v_add_nc_u32_e32 v22, v7, v8
	;; [unrolled: 3-line block ×3, first 2 shown]
	v_add_nc_u32_e32 v2, v1, v3
	ds_store_2addr_b64 v13, v[4:5], v[6:7] offset1:1
	ds_store_2addr_b64 v13, v[22:23], v[1:2] offset0:2 offset1:3
	s_waitcnt lgkmcnt(0)
	s_barrier
	buffer_gl0_inv
	ds_load_u16 v1, v20
	v_and_b32_e32 v2, 0xffff, v21
	s_waitcnt lgkmcnt(0)
	s_barrier
	buffer_gl0_inv
	v_lshlrev_b32_e32 v2, 2, v2
	s_delay_alu instid0(VALU_DEP_1)
	v_lshl_add_u32 v1, v1, 2, v2
	ds_store_b32 v1, v19
	s_waitcnt lgkmcnt(0)
	s_barrier
	buffer_gl0_inv
	ds_load_b32 v19, v14
	s_waitcnt lgkmcnt(0)
	s_barrier
	buffer_gl0_inv
	ds_store_b32 v1, v18
	s_waitcnt lgkmcnt(0)
	s_barrier
	buffer_gl0_inv
	ds_load_b32 v18, v14
	s_waitcnt lgkmcnt(0)
	s_barrier
	buffer_gl0_inv
	s_and_saveexec_b32 s11, s10
	s_cbranch_execz .LBB48_92
; %bb.84:
	v_mov_b32_e32 v1, 0
	v_cmp_gt_u32_e32 vcc_lo, 0x103, v0
	ds_store_b32 v17, v1
	s_and_b32 exec_lo, exec_lo, vcc_lo
	s_cbranch_execz .LBB48_92
; %bb.85:
	v_cmp_gt_u32_e32 vcc_lo, 0xde, v0
	ds_store_b32 v17, v1 offset:148
	s_and_b32 exec_lo, exec_lo, vcc_lo
	s_cbranch_execz .LBB48_92
; %bb.86:
	v_mov_b32_e32 v1, 0
	v_cmp_gt_u32_e32 vcc_lo, 0xb9, v0
	ds_store_b32 v17, v1 offset:296
	s_and_b32 exec_lo, exec_lo, vcc_lo
	s_cbranch_execz .LBB48_92
; %bb.87:
	v_cmp_gt_u32_e32 vcc_lo, 0x94, v0
	ds_store_b32 v17, v1 offset:444
	s_and_b32 exec_lo, exec_lo, vcc_lo
	s_cbranch_execz .LBB48_92
; %bb.88:
	v_mov_b32_e32 v1, 0
	v_cmp_gt_u32_e32 vcc_lo, 0x6f, v0
	ds_store_b32 v17, v1 offset:592
	;; [unrolled: 11-line block ×3, first 2 shown]
	s_and_b32 exec_lo, exec_lo, vcc_lo
	s_cbranch_execz .LBB48_92
; %bb.91:
	ds_store_b32 v17, v1 offset:1036
.LBB48_92:
	s_or_b32 exec_lo, exec_lo, s11
	v_lshrrev_b32_e32 v1, 16, v19
	v_cmp_ne_u32_e32 vcc_lo, 0x7fffffff, v19
	s_delay_alu instid0(VALU_DEP_2) | instskip(NEXT) | instid1(VALU_DEP_1)
	v_cndmask_b32_e32 v1, 0x8000, v1, vcc_lo
	v_and_b32_e32 v2, 7, v1
	v_lshrrev_b32_e32 v1, 2, v1
	s_delay_alu instid0(VALU_DEP_2) | instskip(NEXT) | instid1(VALU_DEP_2)
	v_mad_u32_u24 v2, v2, 37, v0
	v_and_b32_e32 v1, 2, v1
	s_delay_alu instid0(VALU_DEP_1)
	v_lshl_or_b32 v20, v2, 2, v1
	ds_load_u16 v21, v20
	s_waitcnt lgkmcnt(0)
	v_add_nc_u16 v1, v21, 1
	ds_store_b16 v20, v1
	s_waitcnt lgkmcnt(0)
	s_barrier
	buffer_gl0_inv
	ds_load_2addr_b64 v[5:8], v13 offset1:1
	ds_load_2addr_b64 v[1:4], v13 offset0:2 offset1:3
	s_waitcnt lgkmcnt(1)
	v_add_nc_u32_e32 v22, v6, v5
	s_delay_alu instid0(VALU_DEP_1) | instskip(SKIP_1) | instid1(VALU_DEP_1)
	v_add3_u32 v22, v22, v7, v8
	s_waitcnt lgkmcnt(0)
	v_add3_u32 v22, v22, v1, v2
	s_delay_alu instid0(VALU_DEP_1) | instskip(NEXT) | instid1(VALU_DEP_1)
	v_add3_u32 v4, v22, v3, v4
	v_mov_b32_dpp v22, v4 row_shr:1 row_mask:0xf bank_mask:0xf
	s_delay_alu instid0(VALU_DEP_1) | instskip(NEXT) | instid1(VALU_DEP_1)
	v_cndmask_b32_e64 v22, v22, 0, s8
	v_add_nc_u32_e32 v4, v22, v4
	s_delay_alu instid0(VALU_DEP_1) | instskip(NEXT) | instid1(VALU_DEP_1)
	v_mov_b32_dpp v22, v4 row_shr:2 row_mask:0xf bank_mask:0xf
	v_cndmask_b32_e64 v22, 0, v22, s7
	s_delay_alu instid0(VALU_DEP_1) | instskip(NEXT) | instid1(VALU_DEP_1)
	v_add_nc_u32_e32 v4, v4, v22
	v_mov_b32_dpp v22, v4 row_shr:4 row_mask:0xf bank_mask:0xf
	s_delay_alu instid0(VALU_DEP_1) | instskip(NEXT) | instid1(VALU_DEP_1)
	v_cndmask_b32_e64 v22, 0, v22, s6
	v_add_nc_u32_e32 v4, v4, v22
	s_delay_alu instid0(VALU_DEP_1) | instskip(NEXT) | instid1(VALU_DEP_1)
	v_mov_b32_dpp v22, v4 row_shr:8 row_mask:0xf bank_mask:0xf
	v_cndmask_b32_e64 v22, 0, v22, s5
	s_delay_alu instid0(VALU_DEP_1) | instskip(SKIP_3) | instid1(VALU_DEP_1)
	v_add_nc_u32_e32 v4, v4, v22
	ds_swizzle_b32 v22, v4 offset:swizzle(BROADCAST,32,15)
	s_waitcnt lgkmcnt(0)
	v_cndmask_b32_e64 v22, v22, 0, s4
	v_add_nc_u32_e32 v4, v4, v22
	s_and_saveexec_b32 s11, s9
	s_cbranch_execz .LBB48_94
; %bb.93:
	ds_store_b32 v15, v4 offset:1184
.LBB48_94:
	s_or_b32 exec_lo, exec_lo, s11
	s_waitcnt lgkmcnt(0)
	s_barrier
	buffer_gl0_inv
	s_and_saveexec_b32 s11, s2
	s_cbranch_execz .LBB48_96
; %bb.95:
	ds_load_b32 v22, v14 offset:1184
	s_waitcnt lgkmcnt(0)
	v_mov_b32_dpp v23, v22 row_shr:1 row_mask:0xf bank_mask:0xf
	s_delay_alu instid0(VALU_DEP_1) | instskip(NEXT) | instid1(VALU_DEP_1)
	v_cndmask_b32_e64 v23, v23, 0, s3
	v_add_nc_u32_e32 v22, v23, v22
	ds_store_b32 v14, v22 offset:1184
.LBB48_96:
	s_or_b32 exec_lo, exec_lo, s11
	v_dual_mov_b32 v22, 0 :: v_dual_mov_b32 v23, 0
	s_waitcnt lgkmcnt(0)
	s_barrier
	buffer_gl0_inv
	s_and_saveexec_b32 s11, s1
	s_cbranch_execz .LBB48_98
; %bb.97:
	ds_load_b32 v23, v15 offset:1180
.LBB48_98:
	s_or_b32 exec_lo, exec_lo, s11
	s_waitcnt lgkmcnt(0)
	v_add_nc_u32_e32 v4, v23, v4
	ds_load_b32 v22, v22 offset:1188
	ds_bpermute_b32 v4, v16, v4
	s_waitcnt lgkmcnt(0)
	v_cndmask_b32_e64 v4, v4, v23, s0
	s_delay_alu instid0(VALU_DEP_1) | instskip(NEXT) | instid1(VALU_DEP_1)
	v_lshl_add_u32 v4, v22, 16, v4
	v_add_nc_u32_e32 v5, v4, v5
	s_delay_alu instid0(VALU_DEP_1) | instskip(NEXT) | instid1(VALU_DEP_1)
	v_add_nc_u32_e32 v6, v5, v6
	v_add_nc_u32_e32 v7, v6, v7
	s_delay_alu instid0(VALU_DEP_1) | instskip(NEXT) | instid1(VALU_DEP_1)
	v_add_nc_u32_e32 v22, v7, v8
	;; [unrolled: 3-line block ×3, first 2 shown]
	v_add_nc_u32_e32 v2, v1, v3
	ds_store_2addr_b64 v13, v[4:5], v[6:7] offset1:1
	ds_store_2addr_b64 v13, v[22:23], v[1:2] offset0:2 offset1:3
	s_waitcnt lgkmcnt(0)
	s_barrier
	buffer_gl0_inv
	ds_load_u16 v1, v20
	v_and_b32_e32 v2, 0xffff, v21
	s_waitcnt lgkmcnt(0)
	s_barrier
	buffer_gl0_inv
	v_lshlrev_b32_e32 v2, 2, v2
	s_delay_alu instid0(VALU_DEP_1)
	v_lshl_add_u32 v1, v1, 2, v2
	ds_store_b32 v1, v19
	s_waitcnt lgkmcnt(0)
	s_barrier
	buffer_gl0_inv
	ds_load_b32 v19, v14
	s_waitcnt lgkmcnt(0)
	s_barrier
	buffer_gl0_inv
	ds_store_b32 v1, v18
	s_waitcnt lgkmcnt(0)
	s_barrier
	buffer_gl0_inv
	ds_load_b32 v18, v14
	s_waitcnt lgkmcnt(0)
	s_barrier
	buffer_gl0_inv
	s_and_saveexec_b32 s11, s10
	s_cbranch_execz .LBB48_107
; %bb.99:
	v_mov_b32_e32 v1, 0
	v_cmp_gt_u32_e32 vcc_lo, 0x103, v0
	ds_store_b32 v17, v1
	s_and_b32 exec_lo, exec_lo, vcc_lo
	s_cbranch_execz .LBB48_107
; %bb.100:
	v_cmp_gt_u32_e32 vcc_lo, 0xde, v0
	ds_store_b32 v17, v1 offset:148
	s_and_b32 exec_lo, exec_lo, vcc_lo
	s_cbranch_execz .LBB48_107
; %bb.101:
	v_mov_b32_e32 v1, 0
	v_cmp_gt_u32_e32 vcc_lo, 0xb9, v0
	ds_store_b32 v17, v1 offset:296
	s_and_b32 exec_lo, exec_lo, vcc_lo
	s_cbranch_execz .LBB48_107
; %bb.102:
	v_cmp_gt_u32_e32 vcc_lo, 0x94, v0
	ds_store_b32 v17, v1 offset:444
	s_and_b32 exec_lo, exec_lo, vcc_lo
	s_cbranch_execz .LBB48_107
; %bb.103:
	v_mov_b32_e32 v1, 0
	v_cmp_gt_u32_e32 vcc_lo, 0x6f, v0
	ds_store_b32 v17, v1 offset:592
	;; [unrolled: 11-line block ×3, first 2 shown]
	s_and_b32 exec_lo, exec_lo, vcc_lo
	s_cbranch_execz .LBB48_107
; %bb.106:
	ds_store_b32 v17, v1 offset:1036
.LBB48_107:
	s_or_b32 exec_lo, exec_lo, s11
	v_lshrrev_b32_e32 v1, 20, v19
	v_cmp_ne_u32_e32 vcc_lo, 0x7fffffff, v19
	s_delay_alu instid0(VALU_DEP_2) | instskip(NEXT) | instid1(VALU_DEP_1)
	v_cndmask_b32_e32 v1, 0x800, v1, vcc_lo
	v_and_b32_e32 v2, 7, v1
	v_lshrrev_b32_e32 v1, 2, v1
	s_delay_alu instid0(VALU_DEP_2) | instskip(NEXT) | instid1(VALU_DEP_2)
	v_mad_u32_u24 v2, v2, 37, v0
	v_and_b32_e32 v1, 2, v1
	s_delay_alu instid0(VALU_DEP_1)
	v_lshl_or_b32 v20, v2, 2, v1
	ds_load_u16 v21, v20
	s_waitcnt lgkmcnt(0)
	v_add_nc_u16 v1, v21, 1
	ds_store_b16 v20, v1
	s_waitcnt lgkmcnt(0)
	s_barrier
	buffer_gl0_inv
	ds_load_2addr_b64 v[5:8], v13 offset1:1
	ds_load_2addr_b64 v[1:4], v13 offset0:2 offset1:3
	s_waitcnt lgkmcnt(1)
	v_add_nc_u32_e32 v22, v6, v5
	s_delay_alu instid0(VALU_DEP_1) | instskip(SKIP_1) | instid1(VALU_DEP_1)
	v_add3_u32 v22, v22, v7, v8
	s_waitcnt lgkmcnt(0)
	v_add3_u32 v22, v22, v1, v2
	s_delay_alu instid0(VALU_DEP_1) | instskip(NEXT) | instid1(VALU_DEP_1)
	v_add3_u32 v4, v22, v3, v4
	v_mov_b32_dpp v22, v4 row_shr:1 row_mask:0xf bank_mask:0xf
	s_delay_alu instid0(VALU_DEP_1) | instskip(NEXT) | instid1(VALU_DEP_1)
	v_cndmask_b32_e64 v22, v22, 0, s8
	v_add_nc_u32_e32 v4, v22, v4
	s_delay_alu instid0(VALU_DEP_1) | instskip(NEXT) | instid1(VALU_DEP_1)
	v_mov_b32_dpp v22, v4 row_shr:2 row_mask:0xf bank_mask:0xf
	v_cndmask_b32_e64 v22, 0, v22, s7
	s_delay_alu instid0(VALU_DEP_1) | instskip(NEXT) | instid1(VALU_DEP_1)
	v_add_nc_u32_e32 v4, v4, v22
	v_mov_b32_dpp v22, v4 row_shr:4 row_mask:0xf bank_mask:0xf
	s_delay_alu instid0(VALU_DEP_1) | instskip(NEXT) | instid1(VALU_DEP_1)
	v_cndmask_b32_e64 v22, 0, v22, s6
	v_add_nc_u32_e32 v4, v4, v22
	s_delay_alu instid0(VALU_DEP_1) | instskip(NEXT) | instid1(VALU_DEP_1)
	v_mov_b32_dpp v22, v4 row_shr:8 row_mask:0xf bank_mask:0xf
	v_cndmask_b32_e64 v22, 0, v22, s5
	s_delay_alu instid0(VALU_DEP_1) | instskip(SKIP_3) | instid1(VALU_DEP_1)
	v_add_nc_u32_e32 v4, v4, v22
	ds_swizzle_b32 v22, v4 offset:swizzle(BROADCAST,32,15)
	s_waitcnt lgkmcnt(0)
	v_cndmask_b32_e64 v22, v22, 0, s4
	v_add_nc_u32_e32 v4, v4, v22
	s_and_saveexec_b32 s11, s9
	s_cbranch_execz .LBB48_109
; %bb.108:
	ds_store_b32 v15, v4 offset:1184
.LBB48_109:
	s_or_b32 exec_lo, exec_lo, s11
	s_waitcnt lgkmcnt(0)
	s_barrier
	buffer_gl0_inv
	s_and_saveexec_b32 s11, s2
	s_cbranch_execz .LBB48_111
; %bb.110:
	ds_load_b32 v22, v14 offset:1184
	s_waitcnt lgkmcnt(0)
	v_mov_b32_dpp v23, v22 row_shr:1 row_mask:0xf bank_mask:0xf
	s_delay_alu instid0(VALU_DEP_1) | instskip(NEXT) | instid1(VALU_DEP_1)
	v_cndmask_b32_e64 v23, v23, 0, s3
	v_add_nc_u32_e32 v22, v23, v22
	ds_store_b32 v14, v22 offset:1184
.LBB48_111:
	s_or_b32 exec_lo, exec_lo, s11
	v_dual_mov_b32 v22, 0 :: v_dual_mov_b32 v23, 0
	s_waitcnt lgkmcnt(0)
	s_barrier
	buffer_gl0_inv
	s_and_saveexec_b32 s11, s1
	s_cbranch_execz .LBB48_113
; %bb.112:
	ds_load_b32 v23, v15 offset:1180
.LBB48_113:
	s_or_b32 exec_lo, exec_lo, s11
	s_waitcnt lgkmcnt(0)
	v_add_nc_u32_e32 v4, v23, v4
	ds_load_b32 v22, v22 offset:1188
	ds_bpermute_b32 v4, v16, v4
	s_waitcnt lgkmcnt(0)
	v_cndmask_b32_e64 v4, v4, v23, s0
	s_delay_alu instid0(VALU_DEP_1) | instskip(NEXT) | instid1(VALU_DEP_1)
	v_lshl_add_u32 v4, v22, 16, v4
	v_add_nc_u32_e32 v5, v4, v5
	s_delay_alu instid0(VALU_DEP_1) | instskip(NEXT) | instid1(VALU_DEP_1)
	v_add_nc_u32_e32 v6, v5, v6
	v_add_nc_u32_e32 v7, v6, v7
	s_delay_alu instid0(VALU_DEP_1) | instskip(NEXT) | instid1(VALU_DEP_1)
	v_add_nc_u32_e32 v22, v7, v8
	;; [unrolled: 3-line block ×3, first 2 shown]
	v_add_nc_u32_e32 v2, v1, v3
	ds_store_2addr_b64 v13, v[4:5], v[6:7] offset1:1
	ds_store_2addr_b64 v13, v[22:23], v[1:2] offset0:2 offset1:3
	s_waitcnt lgkmcnt(0)
	s_barrier
	buffer_gl0_inv
	ds_load_u16 v1, v20
	v_and_b32_e32 v2, 0xffff, v21
	s_waitcnt lgkmcnt(0)
	s_barrier
	buffer_gl0_inv
	v_lshlrev_b32_e32 v2, 2, v2
	s_delay_alu instid0(VALU_DEP_1)
	v_lshl_add_u32 v1, v1, 2, v2
	ds_store_b32 v1, v19
	s_waitcnt lgkmcnt(0)
	s_barrier
	buffer_gl0_inv
	ds_load_b32 v19, v14
	s_waitcnt lgkmcnt(0)
	s_barrier
	buffer_gl0_inv
	ds_store_b32 v1, v18
	s_waitcnt lgkmcnt(0)
	s_barrier
	buffer_gl0_inv
	ds_load_b32 v18, v14
	s_waitcnt lgkmcnt(0)
	s_barrier
	buffer_gl0_inv
	s_and_saveexec_b32 s11, s10
	s_cbranch_execz .LBB48_122
; %bb.114:
	v_mov_b32_e32 v1, 0
	v_cmp_gt_u32_e32 vcc_lo, 0x103, v0
	ds_store_b32 v17, v1
	s_and_b32 exec_lo, exec_lo, vcc_lo
	s_cbranch_execz .LBB48_122
; %bb.115:
	v_cmp_gt_u32_e32 vcc_lo, 0xde, v0
	ds_store_b32 v17, v1 offset:148
	s_and_b32 exec_lo, exec_lo, vcc_lo
	s_cbranch_execz .LBB48_122
; %bb.116:
	v_mov_b32_e32 v1, 0
	v_cmp_gt_u32_e32 vcc_lo, 0xb9, v0
	ds_store_b32 v17, v1 offset:296
	s_and_b32 exec_lo, exec_lo, vcc_lo
	s_cbranch_execz .LBB48_122
; %bb.117:
	v_cmp_gt_u32_e32 vcc_lo, 0x94, v0
	ds_store_b32 v17, v1 offset:444
	s_and_b32 exec_lo, exec_lo, vcc_lo
	s_cbranch_execz .LBB48_122
; %bb.118:
	v_mov_b32_e32 v1, 0
	v_cmp_gt_u32_e32 vcc_lo, 0x6f, v0
	ds_store_b32 v17, v1 offset:592
	;; [unrolled: 11-line block ×3, first 2 shown]
	s_and_b32 exec_lo, exec_lo, vcc_lo
	s_cbranch_execz .LBB48_122
; %bb.121:
	ds_store_b32 v17, v1 offset:1036
.LBB48_122:
	s_or_b32 exec_lo, exec_lo, s11
	v_lshrrev_b32_e32 v1, 24, v19
	v_cmp_ne_u32_e32 vcc_lo, 0x7fffffff, v19
	s_delay_alu instid0(VALU_DEP_2) | instskip(NEXT) | instid1(VALU_DEP_1)
	v_cndmask_b32_e32 v1, 0x80, v1, vcc_lo
	v_and_b32_e32 v2, 7, v1
	v_lshrrev_b32_e32 v1, 2, v1
	s_delay_alu instid0(VALU_DEP_2) | instskip(NEXT) | instid1(VALU_DEP_2)
	v_mad_u32_u24 v2, v2, 37, v0
	v_and_b32_e32 v1, 2, v1
	s_delay_alu instid0(VALU_DEP_1)
	v_lshl_or_b32 v20, v2, 2, v1
	ds_load_u16 v21, v20
	s_waitcnt lgkmcnt(0)
	v_add_nc_u16 v1, v21, 1
	ds_store_b16 v20, v1
	s_waitcnt lgkmcnt(0)
	s_barrier
	buffer_gl0_inv
	ds_load_2addr_b64 v[5:8], v13 offset1:1
	ds_load_2addr_b64 v[1:4], v13 offset0:2 offset1:3
	s_waitcnt lgkmcnt(1)
	v_add_nc_u32_e32 v22, v6, v5
	s_delay_alu instid0(VALU_DEP_1) | instskip(SKIP_1) | instid1(VALU_DEP_1)
	v_add3_u32 v22, v22, v7, v8
	s_waitcnt lgkmcnt(0)
	v_add3_u32 v22, v22, v1, v2
	s_delay_alu instid0(VALU_DEP_1) | instskip(NEXT) | instid1(VALU_DEP_1)
	v_add3_u32 v4, v22, v3, v4
	v_mov_b32_dpp v22, v4 row_shr:1 row_mask:0xf bank_mask:0xf
	s_delay_alu instid0(VALU_DEP_1) | instskip(NEXT) | instid1(VALU_DEP_1)
	v_cndmask_b32_e64 v22, v22, 0, s8
	v_add_nc_u32_e32 v4, v22, v4
	s_delay_alu instid0(VALU_DEP_1) | instskip(NEXT) | instid1(VALU_DEP_1)
	v_mov_b32_dpp v22, v4 row_shr:2 row_mask:0xf bank_mask:0xf
	v_cndmask_b32_e64 v22, 0, v22, s7
	s_delay_alu instid0(VALU_DEP_1) | instskip(NEXT) | instid1(VALU_DEP_1)
	v_add_nc_u32_e32 v4, v4, v22
	v_mov_b32_dpp v22, v4 row_shr:4 row_mask:0xf bank_mask:0xf
	s_delay_alu instid0(VALU_DEP_1) | instskip(NEXT) | instid1(VALU_DEP_1)
	v_cndmask_b32_e64 v22, 0, v22, s6
	v_add_nc_u32_e32 v4, v4, v22
	s_delay_alu instid0(VALU_DEP_1) | instskip(NEXT) | instid1(VALU_DEP_1)
	v_mov_b32_dpp v22, v4 row_shr:8 row_mask:0xf bank_mask:0xf
	v_cndmask_b32_e64 v22, 0, v22, s5
	s_delay_alu instid0(VALU_DEP_1) | instskip(SKIP_3) | instid1(VALU_DEP_1)
	v_add_nc_u32_e32 v4, v4, v22
	ds_swizzle_b32 v22, v4 offset:swizzle(BROADCAST,32,15)
	s_waitcnt lgkmcnt(0)
	v_cndmask_b32_e64 v22, v22, 0, s4
	v_add_nc_u32_e32 v4, v4, v22
	s_and_saveexec_b32 s11, s9
	s_cbranch_execz .LBB48_124
; %bb.123:
	ds_store_b32 v15, v4 offset:1184
.LBB48_124:
	s_or_b32 exec_lo, exec_lo, s11
	s_waitcnt lgkmcnt(0)
	s_barrier
	buffer_gl0_inv
	s_and_saveexec_b32 s11, s2
	s_cbranch_execz .LBB48_126
; %bb.125:
	ds_load_b32 v22, v14 offset:1184
	s_waitcnt lgkmcnt(0)
	v_mov_b32_dpp v23, v22 row_shr:1 row_mask:0xf bank_mask:0xf
	s_delay_alu instid0(VALU_DEP_1) | instskip(NEXT) | instid1(VALU_DEP_1)
	v_cndmask_b32_e64 v23, v23, 0, s3
	v_add_nc_u32_e32 v22, v23, v22
	ds_store_b32 v14, v22 offset:1184
.LBB48_126:
	s_or_b32 exec_lo, exec_lo, s11
	v_dual_mov_b32 v22, 0 :: v_dual_mov_b32 v23, 0
	s_waitcnt lgkmcnt(0)
	s_barrier
	buffer_gl0_inv
	s_and_saveexec_b32 s11, s1
	s_cbranch_execz .LBB48_128
; %bb.127:
	ds_load_b32 v23, v15 offset:1180
.LBB48_128:
	s_or_b32 exec_lo, exec_lo, s11
	s_waitcnt lgkmcnt(0)
	v_add_nc_u32_e32 v4, v23, v4
	ds_load_b32 v22, v22 offset:1188
	ds_bpermute_b32 v4, v16, v4
	s_waitcnt lgkmcnt(0)
	v_cndmask_b32_e64 v4, v4, v23, s0
	s_delay_alu instid0(VALU_DEP_1) | instskip(NEXT) | instid1(VALU_DEP_1)
	v_lshl_add_u32 v4, v22, 16, v4
	v_add_nc_u32_e32 v5, v4, v5
	s_delay_alu instid0(VALU_DEP_1) | instskip(NEXT) | instid1(VALU_DEP_1)
	v_add_nc_u32_e32 v6, v5, v6
	v_add_nc_u32_e32 v7, v6, v7
	s_delay_alu instid0(VALU_DEP_1) | instskip(NEXT) | instid1(VALU_DEP_1)
	v_add_nc_u32_e32 v22, v7, v8
	v_add_nc_u32_e32 v23, v22, v1
	s_delay_alu instid0(VALU_DEP_1) | instskip(NEXT) | instid1(VALU_DEP_1)
	v_add_nc_u32_e32 v1, v23, v2
	v_add_nc_u32_e32 v2, v1, v3
	ds_store_2addr_b64 v13, v[4:5], v[6:7] offset1:1
	ds_store_2addr_b64 v13, v[22:23], v[1:2] offset0:2 offset1:3
	s_waitcnt lgkmcnt(0)
	s_barrier
	buffer_gl0_inv
	ds_load_u16 v1, v20
	v_and_b32_e32 v2, 0xffff, v21
	s_waitcnt lgkmcnt(0)
	s_barrier
	buffer_gl0_inv
	v_lshlrev_b32_e32 v2, 2, v2
	s_delay_alu instid0(VALU_DEP_1)
	v_lshl_add_u32 v1, v1, 2, v2
	ds_store_b32 v1, v19
	s_waitcnt lgkmcnt(0)
	s_barrier
	buffer_gl0_inv
	ds_load_b32 v8, v14
	s_waitcnt lgkmcnt(0)
	s_barrier
	buffer_gl0_inv
	ds_store_b32 v1, v18
	s_waitcnt lgkmcnt(0)
	s_barrier
	buffer_gl0_inv
	ds_load_b32 v18, v14
	s_waitcnt lgkmcnt(0)
	s_barrier
	buffer_gl0_inv
	s_and_saveexec_b32 s11, s10
	s_cbranch_execz .LBB48_137
; %bb.129:
	v_mov_b32_e32 v1, 0
	v_cmp_gt_u32_e32 vcc_lo, 0x103, v0
	ds_store_b32 v17, v1
	s_and_b32 exec_lo, exec_lo, vcc_lo
	s_cbranch_execz .LBB48_137
; %bb.130:
	v_cmp_gt_u32_e32 vcc_lo, 0xde, v0
	ds_store_b32 v17, v1 offset:148
	s_and_b32 exec_lo, exec_lo, vcc_lo
	s_cbranch_execz .LBB48_137
; %bb.131:
	v_mov_b32_e32 v1, 0
	v_cmp_gt_u32_e32 vcc_lo, 0xb9, v0
	ds_store_b32 v17, v1 offset:296
	s_and_b32 exec_lo, exec_lo, vcc_lo
	s_cbranch_execz .LBB48_137
; %bb.132:
	v_cmp_gt_u32_e32 vcc_lo, 0x94, v0
	ds_store_b32 v17, v1 offset:444
	s_and_b32 exec_lo, exec_lo, vcc_lo
	s_cbranch_execz .LBB48_137
; %bb.133:
	v_mov_b32_e32 v1, 0
	v_cmp_gt_u32_e32 vcc_lo, 0x6f, v0
	ds_store_b32 v17, v1 offset:592
	;; [unrolled: 11-line block ×3, first 2 shown]
	s_and_b32 exec_lo, exec_lo, vcc_lo
	s_cbranch_execz .LBB48_137
; %bb.136:
	ds_store_b32 v17, v1 offset:1036
.LBB48_137:
	s_or_b32 exec_lo, exec_lo, s11
	v_lshrrev_b32_e32 v1, 28, v8
	v_cmp_ne_u32_e32 vcc_lo, 0x7fffffff, v8
	s_delay_alu instid0(VALU_DEP_2) | instskip(NEXT) | instid1(VALU_DEP_1)
	v_cndmask_b32_e32 v1, 8, v1, vcc_lo
	v_and_b32_e32 v2, 7, v1
	v_lshrrev_b32_e32 v1, 2, v1
	s_delay_alu instid0(VALU_DEP_2) | instskip(NEXT) | instid1(VALU_DEP_2)
	v_mad_u32_u24 v0, v2, 37, v0
	v_and_b32_e32 v1, 2, v1
	s_delay_alu instid0(VALU_DEP_1)
	v_lshl_or_b32 v17, v0, 2, v1
	ds_load_u16 v19, v17
	s_waitcnt lgkmcnt(0)
	v_add_nc_u16 v0, v19, 1
	ds_store_b16 v17, v0
	s_waitcnt lgkmcnt(0)
	s_barrier
	buffer_gl0_inv
	ds_load_2addr_b64 v[4:7], v13 offset1:1
	ds_load_2addr_b64 v[0:3], v13 offset0:2 offset1:3
	s_waitcnt lgkmcnt(1)
	v_add_nc_u32_e32 v20, v5, v4
	s_delay_alu instid0(VALU_DEP_1) | instskip(SKIP_1) | instid1(VALU_DEP_1)
	v_add3_u32 v20, v20, v6, v7
	s_waitcnt lgkmcnt(0)
	v_add3_u32 v20, v20, v0, v1
	s_delay_alu instid0(VALU_DEP_1) | instskip(NEXT) | instid1(VALU_DEP_1)
	v_add3_u32 v3, v20, v2, v3
	v_mov_b32_dpp v20, v3 row_shr:1 row_mask:0xf bank_mask:0xf
	s_delay_alu instid0(VALU_DEP_1) | instskip(NEXT) | instid1(VALU_DEP_1)
	v_cndmask_b32_e64 v20, v20, 0, s8
	v_add_nc_u32_e32 v3, v20, v3
	s_delay_alu instid0(VALU_DEP_1) | instskip(NEXT) | instid1(VALU_DEP_1)
	v_mov_b32_dpp v20, v3 row_shr:2 row_mask:0xf bank_mask:0xf
	v_cndmask_b32_e64 v20, 0, v20, s7
	s_delay_alu instid0(VALU_DEP_1) | instskip(NEXT) | instid1(VALU_DEP_1)
	v_add_nc_u32_e32 v3, v3, v20
	v_mov_b32_dpp v20, v3 row_shr:4 row_mask:0xf bank_mask:0xf
	s_delay_alu instid0(VALU_DEP_1) | instskip(NEXT) | instid1(VALU_DEP_1)
	v_cndmask_b32_e64 v20, 0, v20, s6
	v_add_nc_u32_e32 v3, v3, v20
	s_delay_alu instid0(VALU_DEP_1) | instskip(NEXT) | instid1(VALU_DEP_1)
	v_mov_b32_dpp v20, v3 row_shr:8 row_mask:0xf bank_mask:0xf
	v_cndmask_b32_e64 v20, 0, v20, s5
	s_delay_alu instid0(VALU_DEP_1) | instskip(SKIP_3) | instid1(VALU_DEP_1)
	v_add_nc_u32_e32 v3, v3, v20
	ds_swizzle_b32 v20, v3 offset:swizzle(BROADCAST,32,15)
	s_waitcnt lgkmcnt(0)
	v_cndmask_b32_e64 v20, v20, 0, s4
	v_add_nc_u32_e32 v3, v3, v20
	s_and_saveexec_b32 s4, s9
	s_cbranch_execz .LBB48_139
; %bb.138:
	ds_store_b32 v15, v3 offset:1184
.LBB48_139:
	s_or_b32 exec_lo, exec_lo, s4
	s_waitcnt lgkmcnt(0)
	s_barrier
	buffer_gl0_inv
	s_and_saveexec_b32 s4, s2
	s_cbranch_execz .LBB48_141
; %bb.140:
	ds_load_b32 v20, v14 offset:1184
	s_waitcnt lgkmcnt(0)
	v_mov_b32_dpp v21, v20 row_shr:1 row_mask:0xf bank_mask:0xf
	s_delay_alu instid0(VALU_DEP_1) | instskip(NEXT) | instid1(VALU_DEP_1)
	v_cndmask_b32_e64 v21, v21, 0, s3
	v_add_nc_u32_e32 v20, v21, v20
	ds_store_b32 v14, v20 offset:1184
.LBB48_141:
	s_or_b32 exec_lo, exec_lo, s4
	v_dual_mov_b32 v20, 0 :: v_dual_mov_b32 v21, 0
	s_waitcnt lgkmcnt(0)
	s_barrier
	buffer_gl0_inv
	s_and_saveexec_b32 s2, s1
	s_cbranch_execz .LBB48_143
; %bb.142:
	ds_load_b32 v21, v15 offset:1180
.LBB48_143:
	s_or_b32 exec_lo, exec_lo, s2
	s_waitcnt lgkmcnt(0)
	v_add_nc_u32_e32 v3, v21, v3
	ds_load_b32 v15, v20 offset:1188
	ds_bpermute_b32 v3, v16, v3
	s_waitcnt lgkmcnt(0)
	v_cndmask_b32_e64 v3, v3, v21, s0
	s_delay_alu instid0(VALU_DEP_1) | instskip(NEXT) | instid1(VALU_DEP_1)
	v_lshl_add_u32 v3, v15, 16, v3
	v_add_nc_u32_e32 v4, v3, v4
	s_delay_alu instid0(VALU_DEP_1) | instskip(NEXT) | instid1(VALU_DEP_1)
	v_add_nc_u32_e32 v5, v4, v5
	v_add_nc_u32_e32 v6, v5, v6
	s_delay_alu instid0(VALU_DEP_1) | instskip(NEXT) | instid1(VALU_DEP_1)
	v_add_nc_u32_e32 v15, v6, v7
	;; [unrolled: 3-line block ×3, first 2 shown]
	v_add_nc_u32_e32 v1, v0, v2
	ds_store_2addr_b64 v13, v[3:4], v[5:6] offset1:1
	ds_store_2addr_b64 v13, v[15:16], v[0:1] offset0:2 offset1:3
	s_waitcnt lgkmcnt(0)
	s_barrier
	buffer_gl0_inv
	ds_load_u16 v0, v17
	v_and_b32_e32 v1, 0xffff, v19
	s_waitcnt lgkmcnt(0)
	s_barrier
	buffer_gl0_inv
	v_lshlrev_b32_e32 v1, 2, v1
	s_delay_alu instid0(VALU_DEP_1)
	v_lshl_add_u32 v0, v0, 2, v1
	ds_store_b32 v0, v8
	s_waitcnt lgkmcnt(0)
	s_barrier
	buffer_gl0_inv
	ds_load_b32 v2, v14
	s_waitcnt lgkmcnt(0)
	s_barrier
	buffer_gl0_inv
	ds_store_b32 v0, v18
	s_waitcnt lgkmcnt(0)
	s_barrier
.LBB48_144:
	s_waitcnt vmcnt(0)
	buffer_gl0_inv
	ds_load_b32 v0, v14
	v_cmp_lt_i32_e32 vcc_lo, -1, v2
	v_cndmask_b32_e64 v1, 0x80000000, -1, vcc_lo
	s_delay_alu instid0(VALU_DEP_1)
	v_xor_b32_e32 v1, v1, v2
	global_store_b32 v[9:10], v1, off
	s_waitcnt lgkmcnt(0)
	global_store_b32 v[11:12], v0, off
	s_nop 0
	s_sendmsg sendmsg(MSG_DEALLOC_VGPRS)
	s_endpgm
	.section	.rodata,"a",@progbits
	.p2align	6, 0x0
	.amdhsa_kernel _Z21sort_key_value_kernelILj37ELj1ELb0ELb0EfiEvPT3_PT4_jj
		.amdhsa_group_segment_fixed_size 1200
		.amdhsa_private_segment_fixed_size 0
		.amdhsa_kernarg_size 24
		.amdhsa_user_sgpr_count 15
		.amdhsa_user_sgpr_dispatch_ptr 0
		.amdhsa_user_sgpr_queue_ptr 0
		.amdhsa_user_sgpr_kernarg_segment_ptr 1
		.amdhsa_user_sgpr_dispatch_id 0
		.amdhsa_user_sgpr_private_segment_size 0
		.amdhsa_wavefront_size32 1
		.amdhsa_uses_dynamic_stack 0
		.amdhsa_enable_private_segment 0
		.amdhsa_system_sgpr_workgroup_id_x 1
		.amdhsa_system_sgpr_workgroup_id_y 0
		.amdhsa_system_sgpr_workgroup_id_z 0
		.amdhsa_system_sgpr_workgroup_info 0
		.amdhsa_system_vgpr_workitem_id 0
		.amdhsa_next_free_vgpr 24
		.amdhsa_next_free_sgpr 26
		.amdhsa_reserve_vcc 1
		.amdhsa_float_round_mode_32 0
		.amdhsa_float_round_mode_16_64 0
		.amdhsa_float_denorm_mode_32 3
		.amdhsa_float_denorm_mode_16_64 3
		.amdhsa_dx10_clamp 1
		.amdhsa_ieee_mode 1
		.amdhsa_fp16_overflow 0
		.amdhsa_workgroup_processor_mode 1
		.amdhsa_memory_ordered 1
		.amdhsa_forward_progress 0
		.amdhsa_shared_vgpr_count 0
		.amdhsa_exception_fp_ieee_invalid_op 0
		.amdhsa_exception_fp_denorm_src 0
		.amdhsa_exception_fp_ieee_div_zero 0
		.amdhsa_exception_fp_ieee_overflow 0
		.amdhsa_exception_fp_ieee_underflow 0
		.amdhsa_exception_fp_ieee_inexact 0
		.amdhsa_exception_int_div_zero 0
	.end_amdhsa_kernel
	.section	.text._Z21sort_key_value_kernelILj37ELj1ELb0ELb0EfiEvPT3_PT4_jj,"axG",@progbits,_Z21sort_key_value_kernelILj37ELj1ELb0ELb0EfiEvPT3_PT4_jj,comdat
.Lfunc_end48:
	.size	_Z21sort_key_value_kernelILj37ELj1ELb0ELb0EfiEvPT3_PT4_jj, .Lfunc_end48-_Z21sort_key_value_kernelILj37ELj1ELb0ELb0EfiEvPT3_PT4_jj
                                        ; -- End function
	.section	.AMDGPU.csdata,"",@progbits
; Kernel info:
; codeLenInByte = 8564
; NumSgprs: 28
; NumVgprs: 24
; ScratchSize: 0
; MemoryBound: 0
; FloatMode: 240
; IeeeMode: 1
; LDSByteSize: 1200 bytes/workgroup (compile time only)
; SGPRBlocks: 3
; VGPRBlocks: 2
; NumSGPRsForWavesPerEU: 28
; NumVGPRsForWavesPerEU: 24
; Occupancy: 16
; WaveLimiterHint : 0
; COMPUTE_PGM_RSRC2:SCRATCH_EN: 0
; COMPUTE_PGM_RSRC2:USER_SGPR: 15
; COMPUTE_PGM_RSRC2:TRAP_HANDLER: 0
; COMPUTE_PGM_RSRC2:TGID_X_EN: 1
; COMPUTE_PGM_RSRC2:TGID_Y_EN: 0
; COMPUTE_PGM_RSRC2:TGID_Z_EN: 0
; COMPUTE_PGM_RSRC2:TIDIG_COMP_CNT: 0
	.section	.text._Z21sort_key_value_kernelILj65ELj1ELb0ELb0EdjEvPT3_PT4_jj,"axG",@progbits,_Z21sort_key_value_kernelILj65ELj1ELb0ELb0EdjEvPT3_PT4_jj,comdat
	.protected	_Z21sort_key_value_kernelILj65ELj1ELb0ELb0EdjEvPT3_PT4_jj ; -- Begin function _Z21sort_key_value_kernelILj65ELj1ELb0ELb0EdjEvPT3_PT4_jj
	.globl	_Z21sort_key_value_kernelILj65ELj1ELb0ELb0EdjEvPT3_PT4_jj
	.p2align	8
	.type	_Z21sort_key_value_kernelILj65ELj1ELb0ELb0EdjEvPT3_PT4_jj,@function
_Z21sort_key_value_kernelILj65ELj1ELb0ELb0EdjEvPT3_PT4_jj: ; @_Z21sort_key_value_kernelILj65ELj1ELb0ELb0EdjEvPT3_PT4_jj
; %bb.0:
	s_clause 0x1
	s_load_b128 s[4:7], s[0:1], 0x0
	s_load_b64 s[24:25], s[0:1], 0x10
	s_mov_b32 s3, 0
	s_mul_i32 s2, s15, 0x41
	v_lshlrev_b32_e32 v13, 3, v0
	s_lshl_b64 s[8:9], s[2:3], 3
	v_mbcnt_lo_u32_b32 v3, -1, 0
	v_and_b32_e32 v6, 0x60, v0
	v_lshlrev_b32_e32 v17, 5, v0
	v_lshrrev_b32_e32 v8, 3, v0
	v_cmp_gt_u32_e64 s12, 0x1c7, v0
	v_add_nc_u32_e32 v7, -1, v3
	v_and_b32_e32 v4, 15, v3
	v_and_b32_e32 v5, 16, v3
	;; [unrolled: 1-line block ×3, first 2 shown]
	v_mad_i32_i24 v21, 0xffffffe4, v0, v17
	v_cmp_gt_i32_e32 vcc_lo, 0, v7
	v_lshlrev_b32_e32 v14, 2, v0
	v_cmp_gt_u32_e64 s13, 0x186, v0
	v_cmp_gt_u32_e64 s14, 0x145, v0
	s_waitcnt lgkmcnt(0)
	s_add_u32 s20, s4, s8
	s_addc_u32 s21, s5, s9
	s_lshl_b64 s[0:1], s[2:3], 2
	global_load_b64 v[1:2], v13, s[20:21]
	s_add_u32 s22, s6, s0
	s_addc_u32 s23, s7, s1
	v_cmp_eq_u32_e64 s3, 0, v3
	v_cndmask_b32_e32 v3, v7, v3, vcc_lo
	global_load_b32 v23, v14, s[22:23]
	v_cmp_eq_u32_e64 s4, 0, v4
	v_cmp_lt_u32_e64 s5, 1, v4
	v_cmp_lt_u32_e64 s6, 3, v4
	;; [unrolled: 1-line block ×3, first 2 shown]
	v_min_u32_e32 v4, 33, v6
	s_cmp_eq_u32 s24, 0
	v_cmp_eq_u32_e64 s8, 0, v5
	s_cselect_b32 s18, -1, 0
	s_cmp_eq_u32 s25, 64
	v_add_nc_u32_e32 v4, 31, v4
	v_sub_nc_u32_e32 v5, 0, v14
	v_lshlrev_b32_e32 v22, 2, v3
	v_add_nc_u32_e32 v19, v21, v14
	s_cselect_b32 s19, -1, 0
	v_cmp_eq_u32_e64 s11, v4, v0
	s_and_b32 s18, s18, s19
	v_cmp_gt_u32_e64 s0, 0x208, v0
	v_cmp_gt_u32_e64 s1, 3, v0
	v_cmp_lt_u32_e64 s2, 31, v0
	v_cmp_gt_u32_e64 s15, 0x104, v0
	v_cmp_gt_u32_e64 s16, 0xc3, v0
	;; [unrolled: 1-line block ×3, first 2 shown]
	v_and_b32_e32 v20, 12, v8
	v_cmp_eq_u32_e64 s9, 0, v9
	v_cmp_lt_u32_e64 s10, 1, v9
	v_add_nc_u32_e32 v18, v19, v5
	s_mov_b32 s19, -1
	s_waitcnt vmcnt(1)
	v_cmp_lt_i64_e32 vcc_lo, -1, v[1:2]
	v_ashrrev_i32_e32 v4, 31, v2
	s_delay_alu instid0(VALU_DEP_1) | instskip(SKIP_3) | instid1(VALU_DEP_2)
	v_xor_b32_e32 v9, v4, v1
	v_cndmask_b32_e64 v3, -1, 0x80000000, vcc_lo
	s_and_b32 vcc_lo, exec_lo, s18
	v_cmp_gt_u32_e64 s18, 0x41, v0
	v_xor_b32_e32 v10, v3, v2
	s_cbranch_vccnz .LBB49_21
; %bb.1:
	s_waitcnt vmcnt(0)
	v_dual_mov_b32 v16, 0 :: v_dual_mov_b32 v5, v23
	s_delay_alu instid0(VALU_DEP_2)
	v_dual_mov_b32 v1, v9 :: v_dual_mov_b32 v2, v10
	s_mov_b32 s26, -1
	s_brev_b32 s27, -2
	s_sub_i32 s19, s25, s24
	s_branch .LBB49_3
.LBB49_2:                               ;   in Loop: Header=BB49_3 Depth=1
	s_delay_alu instid0(VALU_DEP_1)
	v_add_nc_u32_e32 v5, v3, v4
	s_barrier
	buffer_gl0_inv
	ds_store_b64 v3, v[11:12]
	s_waitcnt lgkmcnt(0)
	s_barrier
	buffer_gl0_inv
	ds_load_b64 v[1:2], v19
	s_waitcnt lgkmcnt(0)
	s_barrier
	buffer_gl0_inv
	ds_store_b32 v5, v15
	s_waitcnt lgkmcnt(0)
	s_barrier
	buffer_gl0_inv
	ds_load_b32 v5, v18
	s_add_i32 s19, s19, -4
	s_waitcnt lgkmcnt(0)
	s_barrier
	buffer_gl0_inv
	s_cbranch_execz .LBB49_20
.LBB49_3:                               ; =>This Inner Loop Header: Depth=1
	v_dual_mov_b32 v12, v2 :: v_dual_mov_b32 v11, v1
	v_mov_b32_e32 v15, v5
	s_and_saveexec_b32 s28, s0
	s_cbranch_execz .LBB49_12
; %bb.4:                                ;   in Loop: Header=BB49_3 Depth=1
	ds_store_b32 v14, v16
	s_and_b32 exec_lo, exec_lo, s12
	s_cbranch_execz .LBB49_12
; %bb.5:                                ;   in Loop: Header=BB49_3 Depth=1
	ds_store_b32 v14, v16 offset:260
	s_and_b32 exec_lo, exec_lo, s13
	s_cbranch_execz .LBB49_12
; %bb.6:                                ;   in Loop: Header=BB49_3 Depth=1
	ds_store_b32 v14, v16 offset:520
	;; [unrolled: 4-line block ×5, first 2 shown]
	s_and_b32 exec_lo, exec_lo, s17
	s_cbranch_execz .LBB49_12
; %bb.10:                               ;   in Loop: Header=BB49_3 Depth=1
	ds_store_b32 v14, v16 offset:1560
	s_and_b32 exec_lo, exec_lo, s18
	s_cbranch_execz .LBB49_12
; %bb.11:                               ;   in Loop: Header=BB49_3 Depth=1
	ds_store_b32 v14, v16 offset:1820
.LBB49_12:                              ;   in Loop: Header=BB49_3 Depth=1
	s_or_b32 exec_lo, exec_lo, s28
	v_cmp_ne_u64_e32 vcc_lo, s[26:27], v[11:12]
	s_min_u32 s28, s19, 4
	v_cndmask_b32_e32 v2, 0x80000000, v12, vcc_lo
	v_cndmask_b32_e32 v1, 0, v11, vcc_lo
	s_delay_alu instid0(VALU_DEP_1) | instskip(NEXT) | instid1(VALU_DEP_1)
	v_lshrrev_b64 v[1:2], s24, v[1:2]
	v_bfe_u32 v1, v1, 0, s28
	s_delay_alu instid0(VALU_DEP_1) | instskip(SKIP_1) | instid1(VALU_DEP_2)
	v_and_b32_e32 v2, 7, v1
	v_lshrrev_b32_e32 v1, 3, v1
	v_mul_u32_u24_e32 v2, 0x41, v2
	s_delay_alu instid0(VALU_DEP_1) | instskip(NEXT) | instid1(VALU_DEP_1)
	v_add_lshl_u32 v2, v2, v0, 1
	v_add_lshl_u32 v24, v2, v1, 1
	ds_load_u16 v25, v24
	s_waitcnt lgkmcnt(0)
	v_add_nc_u16 v1, v25, 1
	ds_store_b16 v24, v1
	s_waitcnt lgkmcnt(0)
	s_barrier
	buffer_gl0_inv
	ds_load_2addr_b64 v[5:8], v17 offset1:1
	ds_load_2addr_b64 v[1:4], v17 offset0:2 offset1:3
	s_waitcnt lgkmcnt(1)
	v_add_nc_u32_e32 v26, v6, v5
	s_delay_alu instid0(VALU_DEP_1) | instskip(SKIP_1) | instid1(VALU_DEP_1)
	v_add3_u32 v26, v26, v7, v8
	s_waitcnt lgkmcnt(0)
	v_add3_u32 v26, v26, v1, v2
	s_delay_alu instid0(VALU_DEP_1) | instskip(NEXT) | instid1(VALU_DEP_1)
	v_add3_u32 v4, v26, v3, v4
	v_mov_b32_dpp v26, v4 row_shr:1 row_mask:0xf bank_mask:0xf
	s_delay_alu instid0(VALU_DEP_1) | instskip(NEXT) | instid1(VALU_DEP_1)
	v_cndmask_b32_e64 v26, v26, 0, s4
	v_add_nc_u32_e32 v4, v26, v4
	s_delay_alu instid0(VALU_DEP_1) | instskip(NEXT) | instid1(VALU_DEP_1)
	v_mov_b32_dpp v26, v4 row_shr:2 row_mask:0xf bank_mask:0xf
	v_cndmask_b32_e64 v26, 0, v26, s5
	s_delay_alu instid0(VALU_DEP_1) | instskip(NEXT) | instid1(VALU_DEP_1)
	v_add_nc_u32_e32 v4, v4, v26
	v_mov_b32_dpp v26, v4 row_shr:4 row_mask:0xf bank_mask:0xf
	s_delay_alu instid0(VALU_DEP_1) | instskip(NEXT) | instid1(VALU_DEP_1)
	v_cndmask_b32_e64 v26, 0, v26, s6
	v_add_nc_u32_e32 v4, v4, v26
	s_delay_alu instid0(VALU_DEP_1) | instskip(NEXT) | instid1(VALU_DEP_1)
	v_mov_b32_dpp v26, v4 row_shr:8 row_mask:0xf bank_mask:0xf
	v_cndmask_b32_e64 v26, 0, v26, s7
	s_delay_alu instid0(VALU_DEP_1) | instskip(SKIP_3) | instid1(VALU_DEP_1)
	v_add_nc_u32_e32 v4, v4, v26
	ds_swizzle_b32 v26, v4 offset:swizzle(BROADCAST,32,15)
	s_waitcnt lgkmcnt(0)
	v_cndmask_b32_e64 v26, v26, 0, s8
	v_add_nc_u32_e32 v4, v4, v26
	s_and_saveexec_b32 s28, s11
	s_cbranch_execz .LBB49_14
; %bb.13:                               ;   in Loop: Header=BB49_3 Depth=1
	ds_store_b32 v20, v4 offset:2080
.LBB49_14:                              ;   in Loop: Header=BB49_3 Depth=1
	s_or_b32 exec_lo, exec_lo, s28
	s_waitcnt lgkmcnt(0)
	s_barrier
	buffer_gl0_inv
	s_and_saveexec_b32 s28, s1
	s_cbranch_execz .LBB49_16
; %bb.15:                               ;   in Loop: Header=BB49_3 Depth=1
	ds_load_b32 v26, v21 offset:2080
	s_waitcnt lgkmcnt(0)
	v_mov_b32_dpp v27, v26 row_shr:1 row_mask:0xf bank_mask:0xf
	s_delay_alu instid0(VALU_DEP_1) | instskip(NEXT) | instid1(VALU_DEP_1)
	v_cndmask_b32_e64 v27, v27, 0, s9
	v_add_nc_u32_e32 v26, v27, v26
	s_delay_alu instid0(VALU_DEP_1) | instskip(NEXT) | instid1(VALU_DEP_1)
	v_mov_b32_dpp v27, v26 row_shr:2 row_mask:0xf bank_mask:0xf
	v_cndmask_b32_e64 v27, 0, v27, s10
	s_delay_alu instid0(VALU_DEP_1)
	v_add_nc_u32_e32 v26, v26, v27
	ds_store_b32 v21, v26 offset:2080
.LBB49_16:                              ;   in Loop: Header=BB49_3 Depth=1
	s_or_b32 exec_lo, exec_lo, s28
	v_mov_b32_e32 v26, 0
	s_waitcnt lgkmcnt(0)
	s_barrier
	buffer_gl0_inv
	s_and_saveexec_b32 s28, s2
	s_cbranch_execz .LBB49_18
; %bb.17:                               ;   in Loop: Header=BB49_3 Depth=1
	ds_load_b32 v26, v20 offset:2076
.LBB49_18:                              ;   in Loop: Header=BB49_3 Depth=1
	s_or_b32 exec_lo, exec_lo, s28
	s_waitcnt lgkmcnt(0)
	v_add_nc_u32_e32 v4, v26, v4
	ds_load_b32 v27, v16 offset:2088
	s_add_i32 s24, s24, 4
	s_delay_alu instid0(SALU_CYCLE_1) | instskip(SKIP_3) | instid1(VALU_DEP_1)
	s_cmp_ge_u32 s24, s25
	ds_bpermute_b32 v4, v22, v4
	s_waitcnt lgkmcnt(0)
	v_cndmask_b32_e64 v4, v4, v26, s3
	v_lshl_add_u32 v4, v27, 16, v4
	s_delay_alu instid0(VALU_DEP_1) | instskip(NEXT) | instid1(VALU_DEP_1)
	v_add_nc_u32_e32 v5, v4, v5
	v_add_nc_u32_e32 v6, v5, v6
	s_delay_alu instid0(VALU_DEP_1) | instskip(NEXT) | instid1(VALU_DEP_1)
	v_add_nc_u32_e32 v7, v6, v7
	v_add_nc_u32_e32 v26, v7, v8
	;; [unrolled: 3-line block ×3, first 2 shown]
	s_delay_alu instid0(VALU_DEP_1)
	v_add_nc_u32_e32 v2, v1, v3
	ds_store_2addr_b64 v17, v[4:5], v[6:7] offset1:1
	ds_store_2addr_b64 v17, v[26:27], v[1:2] offset0:2 offset1:3
	s_waitcnt lgkmcnt(0)
	s_barrier
	buffer_gl0_inv
	ds_load_u16 v1, v24
	v_and_b32_e32 v2, 0xffff, v25
	s_waitcnt lgkmcnt(0)
	s_delay_alu instid0(VALU_DEP_1) | instskip(NEXT) | instid1(VALU_DEP_1)
	v_add_nc_u32_e32 v1, v1, v2
	v_lshlrev_b32_e32 v2, 2, v1
	v_lshlrev_b32_e32 v3, 3, v1
	s_delay_alu instid0(VALU_DEP_2)
	v_sub_nc_u32_e32 v4, 0, v2
	s_cbranch_scc0 .LBB49_2
; %bb.19:
                                        ; implicit-def: $vgpr1_vgpr2
                                        ; implicit-def: $vgpr5
                                        ; implicit-def: $sgpr19
.LBB49_20:
	s_barrier
	buffer_gl0_inv
	ds_store_b64 v3, v[11:12]
	s_waitcnt lgkmcnt(0)
	s_barrier
	buffer_gl0_inv
	ds_load_b64 v[1:2], v19
	v_add_nc_u32_e32 v3, v3, v4
	s_waitcnt lgkmcnt(0)
	s_barrier
	buffer_gl0_inv
	s_mov_b32 s19, 0
	ds_store_b32 v3, v15
	s_waitcnt lgkmcnt(0)
	s_barrier
	s_branch .LBB49_22
.LBB49_21:
                                        ; implicit-def: $vgpr1_vgpr2
.LBB49_22:
	v_add_co_u32 v11, s12, s20, v13
	s_delay_alu instid0(VALU_DEP_1) | instskip(SKIP_1) | instid1(VALU_DEP_1)
	v_add_co_ci_u32_e64 v12, null, s21, 0, s12
	v_add_co_u32 v13, s12, s22, v14
	v_add_co_ci_u32_e64 v14, null, s23, 0, s12
	s_and_b32 vcc_lo, exec_lo, s19
	s_cbranch_vccz .LBB49_43
; %bb.23:
	v_cmp_gt_u32_e64 s12, 0x1c7, v0
	v_cmp_gt_u32_e64 s13, 0x186, v0
	;; [unrolled: 1-line block ×7, first 2 shown]
	v_mov_b32_e32 v25, 0
	s_mov_b32 s20, -1
	s_brev_b32 s21, -2
	s_mov_b64 s[22:23], 0
	s_branch .LBB49_25
.LBB49_24:                              ;   in Loop: Header=BB49_25 Depth=1
	s_delay_alu instid0(VALU_DEP_1)
	v_lshlrev_b32_e32 v1, 3, v3
	v_lshlrev_b32_e32 v2, 2, v3
	s_barrier
	buffer_gl0_inv
	ds_store_b64 v1, v[15:16]
	v_sub_nc_u32_e32 v1, v1, v2
	s_waitcnt lgkmcnt(0)
	s_barrier
	buffer_gl0_inv
	ds_load_b64 v[9:10], v19
	s_waitcnt lgkmcnt(0)
	s_barrier
	buffer_gl0_inv
	ds_store_b32 v1, v24
	s_waitcnt lgkmcnt(0)
	s_barrier
	buffer_gl0_inv
	ds_load_b32 v23, v18
	s_add_u32 s22, s22, 4
	s_addc_u32 s23, s23, 0
	s_waitcnt lgkmcnt(0)
	s_barrier
	buffer_gl0_inv
	s_cbranch_execz .LBB49_42
.LBB49_25:                              ; =>This Inner Loop Header: Depth=1
	v_dual_mov_b32 v16, v10 :: v_dual_mov_b32 v15, v9
	s_waitcnt vmcnt(0)
	v_mov_b32_e32 v24, v23
	s_and_saveexec_b32 s19, s0
	s_cbranch_execz .LBB49_34
; %bb.26:                               ;   in Loop: Header=BB49_25 Depth=1
	ds_store_b32 v18, v25
	s_and_b32 exec_lo, exec_lo, s12
	s_cbranch_execz .LBB49_34
; %bb.27:                               ;   in Loop: Header=BB49_25 Depth=1
	ds_store_b32 v18, v25 offset:260
	s_and_b32 exec_lo, exec_lo, s13
	s_cbranch_execz .LBB49_34
; %bb.28:                               ;   in Loop: Header=BB49_25 Depth=1
	ds_store_b32 v18, v25 offset:520
	;; [unrolled: 4-line block ×7, first 2 shown]
.LBB49_34:                              ;   in Loop: Header=BB49_25 Depth=1
	s_or_b32 exec_lo, exec_lo, s19
	v_cmp_ne_u64_e32 vcc_lo, s[20:21], v[15:16]
	v_cndmask_b32_e32 v2, 0x80000000, v16, vcc_lo
	v_cndmask_b32_e32 v1, 0, v15, vcc_lo
	s_delay_alu instid0(VALU_DEP_1) | instskip(NEXT) | instid1(VALU_DEP_1)
	v_lshrrev_b64 v[1:2], s22, v[1:2]
	v_and_b32_e32 v2, 7, v1
	v_lshrrev_b32_e32 v1, 2, v1
	s_delay_alu instid0(VALU_DEP_2) | instskip(NEXT) | instid1(VALU_DEP_2)
	v_mad_u32_u24 v2, 0x41, v2, v0
	v_and_b32_e32 v1, 2, v1
	s_delay_alu instid0(VALU_DEP_1)
	v_lshl_or_b32 v9, v2, 2, v1
	ds_load_u16 v10, v9
	s_waitcnt lgkmcnt(0)
	v_add_nc_u16 v1, v10, 1
	ds_store_b16 v9, v1
	s_waitcnt lgkmcnt(0)
	s_barrier
	buffer_gl0_inv
	ds_load_2addr_b64 v[5:8], v17 offset1:1
	ds_load_2addr_b64 v[1:4], v17 offset0:2 offset1:3
	s_waitcnt lgkmcnt(1)
	v_add_nc_u32_e32 v23, v6, v5
	s_delay_alu instid0(VALU_DEP_1) | instskip(SKIP_1) | instid1(VALU_DEP_1)
	v_add3_u32 v23, v23, v7, v8
	s_waitcnt lgkmcnt(0)
	v_add3_u32 v23, v23, v1, v2
	s_delay_alu instid0(VALU_DEP_1) | instskip(NEXT) | instid1(VALU_DEP_1)
	v_add3_u32 v4, v23, v3, v4
	v_mov_b32_dpp v23, v4 row_shr:1 row_mask:0xf bank_mask:0xf
	s_delay_alu instid0(VALU_DEP_1) | instskip(NEXT) | instid1(VALU_DEP_1)
	v_cndmask_b32_e64 v23, v23, 0, s4
	v_add_nc_u32_e32 v4, v23, v4
	s_delay_alu instid0(VALU_DEP_1) | instskip(NEXT) | instid1(VALU_DEP_1)
	v_mov_b32_dpp v23, v4 row_shr:2 row_mask:0xf bank_mask:0xf
	v_cndmask_b32_e64 v23, 0, v23, s5
	s_delay_alu instid0(VALU_DEP_1) | instskip(NEXT) | instid1(VALU_DEP_1)
	v_add_nc_u32_e32 v4, v4, v23
	v_mov_b32_dpp v23, v4 row_shr:4 row_mask:0xf bank_mask:0xf
	s_delay_alu instid0(VALU_DEP_1) | instskip(NEXT) | instid1(VALU_DEP_1)
	v_cndmask_b32_e64 v23, 0, v23, s6
	v_add_nc_u32_e32 v4, v4, v23
	s_delay_alu instid0(VALU_DEP_1) | instskip(NEXT) | instid1(VALU_DEP_1)
	v_mov_b32_dpp v23, v4 row_shr:8 row_mask:0xf bank_mask:0xf
	v_cndmask_b32_e64 v23, 0, v23, s7
	s_delay_alu instid0(VALU_DEP_1) | instskip(SKIP_3) | instid1(VALU_DEP_1)
	v_add_nc_u32_e32 v4, v4, v23
	ds_swizzle_b32 v23, v4 offset:swizzle(BROADCAST,32,15)
	s_waitcnt lgkmcnt(0)
	v_cndmask_b32_e64 v23, v23, 0, s8
	v_add_nc_u32_e32 v4, v4, v23
	s_and_saveexec_b32 s19, s11
	s_cbranch_execz .LBB49_36
; %bb.35:                               ;   in Loop: Header=BB49_25 Depth=1
	ds_store_b32 v20, v4 offset:2080
.LBB49_36:                              ;   in Loop: Header=BB49_25 Depth=1
	s_or_b32 exec_lo, exec_lo, s19
	s_waitcnt lgkmcnt(0)
	s_barrier
	buffer_gl0_inv
	s_and_saveexec_b32 s19, s1
	s_cbranch_execz .LBB49_38
; %bb.37:                               ;   in Loop: Header=BB49_25 Depth=1
	ds_load_b32 v23, v21 offset:2080
	s_waitcnt lgkmcnt(0)
	v_mov_b32_dpp v26, v23 row_shr:1 row_mask:0xf bank_mask:0xf
	s_delay_alu instid0(VALU_DEP_1) | instskip(NEXT) | instid1(VALU_DEP_1)
	v_cndmask_b32_e64 v26, v26, 0, s9
	v_add_nc_u32_e32 v23, v26, v23
	s_delay_alu instid0(VALU_DEP_1) | instskip(NEXT) | instid1(VALU_DEP_1)
	v_mov_b32_dpp v26, v23 row_shr:2 row_mask:0xf bank_mask:0xf
	v_cndmask_b32_e64 v26, 0, v26, s10
	s_delay_alu instid0(VALU_DEP_1)
	v_add_nc_u32_e32 v23, v23, v26
	ds_store_b32 v21, v23 offset:2080
.LBB49_38:                              ;   in Loop: Header=BB49_25 Depth=1
	s_or_b32 exec_lo, exec_lo, s19
	v_mov_b32_e32 v23, 0
	s_waitcnt lgkmcnt(0)
	s_barrier
	buffer_gl0_inv
	s_and_saveexec_b32 s19, s2
	s_cbranch_execz .LBB49_40
; %bb.39:                               ;   in Loop: Header=BB49_25 Depth=1
	ds_load_b32 v23, v20 offset:2076
.LBB49_40:                              ;   in Loop: Header=BB49_25 Depth=1
	s_or_b32 exec_lo, exec_lo, s19
	s_waitcnt lgkmcnt(0)
	v_add_nc_u32_e32 v4, v23, v4
	ds_load_b32 v26, v25 offset:2088
	s_cmp_gt_u32 s22, 59
	ds_bpermute_b32 v4, v22, v4
	s_waitcnt lgkmcnt(0)
	v_cndmask_b32_e64 v4, v4, v23, s3
	s_delay_alu instid0(VALU_DEP_1) | instskip(NEXT) | instid1(VALU_DEP_1)
	v_lshl_add_u32 v4, v26, 16, v4
	v_add_nc_u32_e32 v5, v4, v5
	s_delay_alu instid0(VALU_DEP_1) | instskip(NEXT) | instid1(VALU_DEP_1)
	v_add_nc_u32_e32 v6, v5, v6
	v_add_nc_u32_e32 v7, v6, v7
	s_delay_alu instid0(VALU_DEP_1) | instskip(NEXT) | instid1(VALU_DEP_1)
	v_add_nc_u32_e32 v26, v7, v8
	;; [unrolled: 3-line block ×3, first 2 shown]
	v_add_nc_u32_e32 v2, v1, v3
	ds_store_2addr_b64 v17, v[4:5], v[6:7] offset1:1
	ds_store_2addr_b64 v17, v[26:27], v[1:2] offset0:2 offset1:3
	s_waitcnt lgkmcnt(0)
	s_barrier
	buffer_gl0_inv
	ds_load_u16 v1, v9
	v_and_b32_e32 v2, 0xffff, v10
	s_waitcnt lgkmcnt(0)
	s_delay_alu instid0(VALU_DEP_1)
	v_add_nc_u32_e32 v3, v1, v2
	s_cbranch_scc0 .LBB49_24
; %bb.41:
                                        ; implicit-def: $vgpr9_vgpr10
                                        ; implicit-def: $vgpr23
                                        ; implicit-def: $sgpr22_sgpr23
.LBB49_42:
	s_delay_alu instid0(VALU_DEP_1)
	v_lshlrev_b32_e32 v0, 3, v3
	s_barrier
	buffer_gl0_inv
	v_lshlrev_b32_e32 v3, 2, v3
	ds_store_b64 v0, v[15:16]
	s_waitcnt lgkmcnt(0)
	s_barrier
	buffer_gl0_inv
	ds_load_b64 v[1:2], v19
	v_sub_nc_u32_e32 v0, v0, v3
	s_waitcnt lgkmcnt(0)
	s_barrier
	buffer_gl0_inv
	ds_store_b32 v0, v24
	s_waitcnt lgkmcnt(0)
	s_barrier
.LBB49_43:
	s_waitcnt vmcnt(0)
	buffer_gl0_inv
	ds_load_b32 v0, v18
	v_cmp_lt_i64_e32 vcc_lo, -1, v[1:2]
	v_ashrrev_i32_e32 v3, 31, v2
	s_delay_alu instid0(VALU_DEP_1) | instskip(SKIP_1) | instid1(VALU_DEP_2)
	v_not_b32_e32 v3, v3
	v_cndmask_b32_e64 v4, 0x80000000, -1, vcc_lo
	v_xor_b32_e32 v1, v3, v1
	s_delay_alu instid0(VALU_DEP_2)
	v_xor_b32_e32 v2, v4, v2
	global_store_b64 v[11:12], v[1:2], off
	s_waitcnt lgkmcnt(0)
	global_store_b32 v[13:14], v0, off
	s_nop 0
	s_sendmsg sendmsg(MSG_DEALLOC_VGPRS)
	s_endpgm
	.section	.rodata,"a",@progbits
	.p2align	6, 0x0
	.amdhsa_kernel _Z21sort_key_value_kernelILj65ELj1ELb0ELb0EdjEvPT3_PT4_jj
		.amdhsa_group_segment_fixed_size 2096
		.amdhsa_private_segment_fixed_size 0
		.amdhsa_kernarg_size 24
		.amdhsa_user_sgpr_count 15
		.amdhsa_user_sgpr_dispatch_ptr 0
		.amdhsa_user_sgpr_queue_ptr 0
		.amdhsa_user_sgpr_kernarg_segment_ptr 1
		.amdhsa_user_sgpr_dispatch_id 0
		.amdhsa_user_sgpr_private_segment_size 0
		.amdhsa_wavefront_size32 1
		.amdhsa_uses_dynamic_stack 0
		.amdhsa_enable_private_segment 0
		.amdhsa_system_sgpr_workgroup_id_x 1
		.amdhsa_system_sgpr_workgroup_id_y 0
		.amdhsa_system_sgpr_workgroup_id_z 0
		.amdhsa_system_sgpr_workgroup_info 0
		.amdhsa_system_vgpr_workitem_id 0
		.amdhsa_next_free_vgpr 28
		.amdhsa_next_free_sgpr 29
		.amdhsa_reserve_vcc 1
		.amdhsa_float_round_mode_32 0
		.amdhsa_float_round_mode_16_64 0
		.amdhsa_float_denorm_mode_32 3
		.amdhsa_float_denorm_mode_16_64 3
		.amdhsa_dx10_clamp 1
		.amdhsa_ieee_mode 1
		.amdhsa_fp16_overflow 0
		.amdhsa_workgroup_processor_mode 1
		.amdhsa_memory_ordered 1
		.amdhsa_forward_progress 0
		.amdhsa_shared_vgpr_count 0
		.amdhsa_exception_fp_ieee_invalid_op 0
		.amdhsa_exception_fp_denorm_src 0
		.amdhsa_exception_fp_ieee_div_zero 0
		.amdhsa_exception_fp_ieee_overflow 0
		.amdhsa_exception_fp_ieee_underflow 0
		.amdhsa_exception_fp_ieee_inexact 0
		.amdhsa_exception_int_div_zero 0
	.end_amdhsa_kernel
	.section	.text._Z21sort_key_value_kernelILj65ELj1ELb0ELb0EdjEvPT3_PT4_jj,"axG",@progbits,_Z21sort_key_value_kernelILj65ELj1ELb0ELb0EdjEvPT3_PT4_jj,comdat
.Lfunc_end49:
	.size	_Z21sort_key_value_kernelILj65ELj1ELb0ELb0EdjEvPT3_PT4_jj, .Lfunc_end49-_Z21sort_key_value_kernelILj65ELj1ELb0ELb0EdjEvPT3_PT4_jj
                                        ; -- End function
	.section	.AMDGPU.csdata,"",@progbits
; Kernel info:
; codeLenInByte = 2704
; NumSgprs: 31
; NumVgprs: 28
; ScratchSize: 0
; MemoryBound: 0
; FloatMode: 240
; IeeeMode: 1
; LDSByteSize: 2096 bytes/workgroup (compile time only)
; SGPRBlocks: 3
; VGPRBlocks: 3
; NumSGPRsForWavesPerEU: 31
; NumVGPRsForWavesPerEU: 28
; Occupancy: 16
; WaveLimiterHint : 0
; COMPUTE_PGM_RSRC2:SCRATCH_EN: 0
; COMPUTE_PGM_RSRC2:USER_SGPR: 15
; COMPUTE_PGM_RSRC2:TRAP_HANDLER: 0
; COMPUTE_PGM_RSRC2:TGID_X_EN: 1
; COMPUTE_PGM_RSRC2:TGID_Y_EN: 0
; COMPUTE_PGM_RSRC2:TGID_Z_EN: 0
; COMPUTE_PGM_RSRC2:TIDIG_COMP_CNT: 0
	.section	.text._Z21sort_key_value_kernelILj1024ELj1ELb0ELb1EtcEvPT3_PT4_jj,"axG",@progbits,_Z21sort_key_value_kernelILj1024ELj1ELb0ELb1EtcEvPT3_PT4_jj,comdat
	.protected	_Z21sort_key_value_kernelILj1024ELj1ELb0ELb1EtcEvPT3_PT4_jj ; -- Begin function _Z21sort_key_value_kernelILj1024ELj1ELb0ELb1EtcEvPT3_PT4_jj
	.globl	_Z21sort_key_value_kernelILj1024ELj1ELb0ELb1EtcEvPT3_PT4_jj
	.p2align	8
	.type	_Z21sort_key_value_kernelILj1024ELj1ELb0ELb1EtcEvPT3_PT4_jj,@function
_Z21sort_key_value_kernelILj1024ELj1ELb0ELb1EtcEvPT3_PT4_jj: ; @_Z21sort_key_value_kernelILj1024ELj1ELb0ELb1EtcEvPT3_PT4_jj
; %bb.0:
	s_clause 0x1
	s_load_b128 s[4:7], s[0:1], 0x0
	s_load_b64 s[16:17], s[0:1], 0x10
	v_mbcnt_lo_u32_b32 v1, -1, 0
	s_mov_b32 s11, 0
	s_lshl_b32 s10, s15, 10
	s_load_b32 s9, s[0:1], 0x24
	s_lshl_b64 s[2:3], s[10:11], 1
	v_add_nc_u32_e32 v6, -1, v1
	v_and_b32_e32 v5, 16, v1
	v_bfe_u32 v3, v0, 10, 10
	v_and_b32_e32 v4, 15, v1
	v_cmp_eq_u32_e64 s0, 0, v1
	v_cmp_gt_i32_e32 vcc_lo, 0, v6
	v_and_b32_e32 v8, 0x3ff, v0
	v_bfe_u32 v0, v0, 20, 10
	s_waitcnt lgkmcnt(0)
	s_add_u32 s12, s4, s2
	s_addc_u32 s13, s5, s3
	v_cmp_eq_u32_e64 s3, 0, v5
	v_cndmask_b32_e32 v5, v6, v1, vcc_lo
	v_lshlrev_b32_e32 v13, 1, v8
	s_add_u32 s14, s6, s10
	s_addc_u32 s15, s7, 0
	s_cmp_eq_u32 s16, 0
	global_load_u8 v20, v8, s[14:15]
	global_load_u16 v2, v13, s[12:13]
	s_cselect_b32 s10, -1, 0
	s_cmp_eq_u32 s17, 16
	v_lshrrev_b32_e32 v6, 3, v8
	s_cselect_b32 s18, -1, 0
	s_lshr_b32 s19, s9, 16
	s_and_b32 s9, s9, 0xffff
	v_mad_u32_u24 v3, v0, s19, v3
	v_and_or_b32 v22, 0x3e0, v8, v1
	v_lshlrev_b32_e32 v14, 5, v8
	v_cmp_eq_u32_e64 s7, 0, v4
	v_cmp_lt_u32_e64 s6, 1, v4
	v_mad_u64_u32 v[0:1], null, v3, s9, v[8:9]
	v_cmp_lt_u32_e64 s5, 3, v4
	v_cmp_lt_u32_e64 s4, 7, v4
	v_and_b32_e32 v4, 31, v8
	v_mul_i32_i24_e32 v7, 0xffffffe4, v8
	v_and_b32_e32 v19, 0x7c, v6
	v_cmp_gt_u32_e64 s8, 32, v8
	v_cmp_lt_u32_e64 s2, 31, v8
	v_cmp_eq_u32_e64 s1, 0, v8
	v_add_nc_u32_e32 v15, 0x80, v14
	v_cmp_eq_u32_e64 s9, 31, v4
	v_lshlrev_b32_e32 v16, 2, v5
	v_lshlrev_b32_e32 v23, 1, v22
	v_add_nc_u32_e32 v17, -4, v19
	v_lshrrev_b32_e32 v21, 5, v0
	v_add_nc_u32_e32 v18, v14, v7
	s_and_b32 s10, s10, s18
	s_delay_alu instid0(SALU_CYCLE_1)
	s_and_b32 vcc_lo, exec_lo, s10
	s_mov_b32 s10, -1
	s_waitcnt vmcnt(0)
	v_xor_b32_e32 v24, -1, v2
	s_cbranch_vccnz .LBB50_14
; %bb.1:
	s_mov_b32 s10, s11
	s_mov_b32 s18, s11
	;; [unrolled: 1-line block ×3, first 2 shown]
	v_dual_mov_b32 v9, s10 :: v_dual_mov_b32 v10, s11
	v_dual_mov_b32 v11, s18 :: v_dual_mov_b32 v12, s19
	v_mov_b32_e32 v0, v20
	v_mov_b32_e32 v3, v24
	s_sub_i32 s11, s17, s16
	s_branch .LBB50_3
.LBB50_2:                               ;   in Loop: Header=BB50_3 Depth=1
	s_barrier
	buffer_gl0_inv
	ds_store_b16 v2, v25
	s_waitcnt lgkmcnt(0)
	s_barrier
	buffer_gl0_inv
	ds_load_u16 v3, v23
	s_waitcnt lgkmcnt(0)
	s_barrier
	buffer_gl0_inv
	ds_store_b8 v1, v26
	s_waitcnt lgkmcnt(0)
	s_barrier
	buffer_gl0_inv
	ds_load_u8 v0, v22
	s_add_i32 s11, s11, -8
	s_waitcnt lgkmcnt(0)
	s_barrier
	buffer_gl0_inv
	s_cbranch_execz .LBB50_13
.LBB50_3:                               ; =>This Inner Loop Header: Depth=1
	s_delay_alu instid0(VALU_DEP_1)
	v_mov_b32_e32 v25, v3
	s_min_u32 s10, s11, 8
	ds_store_2addr_b64 v14, v[9:10], v[11:12] offset0:16 offset1:17
	ds_store_2addr_b64 v15, v[9:10], v[11:12] offset0:2 offset1:3
	s_waitcnt lgkmcnt(0)
	s_barrier
	v_and_b32_e32 v1, 0xffff, v25
	buffer_gl0_inv
	; wave barrier
	v_lshrrev_b32_e32 v1, s16, v1
	s_delay_alu instid0(VALU_DEP_1) | instskip(NEXT) | instid1(VALU_DEP_1)
	v_bfe_u32 v2, v1, 0, s10
	v_and_b32_e32 v1, 1, v2
	v_lshlrev_b32_e32 v3, 30, v2
	v_lshlrev_b32_e32 v4, 29, v2
	v_lshlrev_b32_e32 v5, 28, v2
	v_lshlrev_b32_e32 v7, 27, v2
	v_add_co_u32 v1, s10, v1, -1
	s_delay_alu instid0(VALU_DEP_1)
	v_cndmask_b32_e64 v6, 0, 1, s10
	v_not_b32_e32 v28, v3
	v_cmp_gt_i32_e64 s10, 0, v3
	v_not_b32_e32 v3, v4
	v_lshlrev_b32_e32 v26, 26, v2
	v_cmp_ne_u32_e32 vcc_lo, 0, v6
	v_ashrrev_i32_e32 v28, 31, v28
	v_lshlrev_b32_e32 v27, 25, v2
	v_ashrrev_i32_e32 v3, 31, v3
	v_lshlrev_b32_e32 v6, 24, v2
	v_xor_b32_e32 v1, vcc_lo, v1
	v_cmp_gt_i32_e32 vcc_lo, 0, v4
	v_not_b32_e32 v4, v5
	v_xor_b32_e32 v28, s10, v28
	v_cmp_gt_i32_e64 s10, 0, v5
	v_and_b32_e32 v1, exec_lo, v1
	v_not_b32_e32 v5, v7
	v_ashrrev_i32_e32 v4, 31, v4
	v_xor_b32_e32 v3, vcc_lo, v3
	v_cmp_gt_i32_e32 vcc_lo, 0, v7
	v_and_b32_e32 v1, v1, v28
	v_not_b32_e32 v7, v26
	v_ashrrev_i32_e32 v5, 31, v5
	v_xor_b32_e32 v4, s10, v4
	v_cmp_gt_i32_e64 s10, 0, v26
	v_dual_mov_b32 v26, v0 :: v_dual_and_b32 v1, v1, v3
	v_not_b32_e32 v3, v27
	v_ashrrev_i32_e32 v7, 31, v7
	v_xor_b32_e32 v5, vcc_lo, v5
	v_cmp_gt_i32_e32 vcc_lo, 0, v27
	v_and_b32_e32 v1, v1, v4
	v_not_b32_e32 v4, v6
	v_ashrrev_i32_e32 v3, 31, v3
	v_xor_b32_e32 v7, s10, v7
	v_cmp_gt_i32_e64 s10, 0, v6
	v_and_b32_e32 v1, v1, v5
	v_ashrrev_i32_e32 v4, 31, v4
	v_xor_b32_e32 v3, vcc_lo, v3
	v_lshl_add_u32 v0, v2, 5, v21
	s_delay_alu instid0(VALU_DEP_4) | instskip(NEXT) | instid1(VALU_DEP_4)
	v_and_b32_e32 v1, v1, v7
	v_xor_b32_e32 v4, s10, v4
	s_delay_alu instid0(VALU_DEP_3) | instskip(NEXT) | instid1(VALU_DEP_3)
	v_lshl_add_u32 v28, v0, 2, 0x80
	v_and_b32_e32 v1, v1, v3
	s_delay_alu instid0(VALU_DEP_1) | instskip(NEXT) | instid1(VALU_DEP_1)
	v_and_b32_e32 v1, v1, v4
	v_mbcnt_lo_u32_b32 v27, v1, 0
	v_cmp_ne_u32_e64 s10, 0, v1
	s_delay_alu instid0(VALU_DEP_2) | instskip(NEXT) | instid1(VALU_DEP_2)
	v_cmp_eq_u32_e32 vcc_lo, 0, v27
	s_and_b32 s18, s10, vcc_lo
	s_delay_alu instid0(SALU_CYCLE_1)
	s_and_saveexec_b32 s10, s18
	s_cbranch_execz .LBB50_5
; %bb.4:                                ;   in Loop: Header=BB50_3 Depth=1
	v_bcnt_u32_b32 v0, v1, 0
	ds_store_b32 v28, v0
.LBB50_5:                               ;   in Loop: Header=BB50_3 Depth=1
	s_or_b32 exec_lo, exec_lo, s10
	; wave barrier
	s_waitcnt lgkmcnt(0)
	s_barrier
	buffer_gl0_inv
	ds_load_2addr_b64 v[4:7], v14 offset0:16 offset1:17
	ds_load_2addr_b64 v[0:3], v15 offset0:2 offset1:3
	s_waitcnt lgkmcnt(1)
	v_add_nc_u32_e32 v29, v5, v4
	s_delay_alu instid0(VALU_DEP_1) | instskip(SKIP_1) | instid1(VALU_DEP_1)
	v_add3_u32 v29, v29, v6, v7
	s_waitcnt lgkmcnt(0)
	v_add3_u32 v29, v29, v0, v1
	s_delay_alu instid0(VALU_DEP_1) | instskip(NEXT) | instid1(VALU_DEP_1)
	v_add3_u32 v3, v29, v2, v3
	v_mov_b32_dpp v29, v3 row_shr:1 row_mask:0xf bank_mask:0xf
	s_delay_alu instid0(VALU_DEP_1) | instskip(NEXT) | instid1(VALU_DEP_1)
	v_cndmask_b32_e64 v29, v29, 0, s7
	v_add_nc_u32_e32 v3, v29, v3
	s_delay_alu instid0(VALU_DEP_1) | instskip(NEXT) | instid1(VALU_DEP_1)
	v_mov_b32_dpp v29, v3 row_shr:2 row_mask:0xf bank_mask:0xf
	v_cndmask_b32_e64 v29, 0, v29, s6
	s_delay_alu instid0(VALU_DEP_1) | instskip(NEXT) | instid1(VALU_DEP_1)
	v_add_nc_u32_e32 v3, v3, v29
	v_mov_b32_dpp v29, v3 row_shr:4 row_mask:0xf bank_mask:0xf
	s_delay_alu instid0(VALU_DEP_1) | instskip(NEXT) | instid1(VALU_DEP_1)
	v_cndmask_b32_e64 v29, 0, v29, s5
	v_add_nc_u32_e32 v3, v3, v29
	s_delay_alu instid0(VALU_DEP_1) | instskip(NEXT) | instid1(VALU_DEP_1)
	v_mov_b32_dpp v29, v3 row_shr:8 row_mask:0xf bank_mask:0xf
	v_cndmask_b32_e64 v29, 0, v29, s4
	s_delay_alu instid0(VALU_DEP_1) | instskip(SKIP_3) | instid1(VALU_DEP_1)
	v_add_nc_u32_e32 v3, v3, v29
	ds_swizzle_b32 v29, v3 offset:swizzle(BROADCAST,32,15)
	s_waitcnt lgkmcnt(0)
	v_cndmask_b32_e64 v29, v29, 0, s3
	v_add_nc_u32_e32 v3, v3, v29
	s_and_saveexec_b32 s10, s9
	s_cbranch_execz .LBB50_7
; %bb.6:                                ;   in Loop: Header=BB50_3 Depth=1
	ds_store_b32 v19, v3
.LBB50_7:                               ;   in Loop: Header=BB50_3 Depth=1
	s_or_b32 exec_lo, exec_lo, s10
	s_waitcnt lgkmcnt(0)
	s_barrier
	buffer_gl0_inv
	s_and_saveexec_b32 s10, s8
	s_cbranch_execz .LBB50_9
; %bb.8:                                ;   in Loop: Header=BB50_3 Depth=1
	ds_load_b32 v29, v18
	s_waitcnt lgkmcnt(0)
	v_mov_b32_dpp v30, v29 row_shr:1 row_mask:0xf bank_mask:0xf
	s_delay_alu instid0(VALU_DEP_1) | instskip(NEXT) | instid1(VALU_DEP_1)
	v_cndmask_b32_e64 v30, v30, 0, s7
	v_add_nc_u32_e32 v29, v30, v29
	s_delay_alu instid0(VALU_DEP_1) | instskip(NEXT) | instid1(VALU_DEP_1)
	v_mov_b32_dpp v30, v29 row_shr:2 row_mask:0xf bank_mask:0xf
	v_cndmask_b32_e64 v30, 0, v30, s6
	s_delay_alu instid0(VALU_DEP_1) | instskip(NEXT) | instid1(VALU_DEP_1)
	v_add_nc_u32_e32 v29, v29, v30
	v_mov_b32_dpp v30, v29 row_shr:4 row_mask:0xf bank_mask:0xf
	s_delay_alu instid0(VALU_DEP_1) | instskip(NEXT) | instid1(VALU_DEP_1)
	v_cndmask_b32_e64 v30, 0, v30, s5
	v_add_nc_u32_e32 v29, v29, v30
	s_delay_alu instid0(VALU_DEP_1) | instskip(NEXT) | instid1(VALU_DEP_1)
	v_mov_b32_dpp v30, v29 row_shr:8 row_mask:0xf bank_mask:0xf
	v_cndmask_b32_e64 v30, 0, v30, s4
	s_delay_alu instid0(VALU_DEP_1) | instskip(SKIP_3) | instid1(VALU_DEP_1)
	v_add_nc_u32_e32 v29, v29, v30
	ds_swizzle_b32 v30, v29 offset:swizzle(BROADCAST,32,15)
	s_waitcnt lgkmcnt(0)
	v_cndmask_b32_e64 v30, v30, 0, s3
	v_add_nc_u32_e32 v29, v29, v30
	ds_store_b32 v18, v29
.LBB50_9:                               ;   in Loop: Header=BB50_3 Depth=1
	s_or_b32 exec_lo, exec_lo, s10
	v_mov_b32_e32 v29, 0
	s_waitcnt lgkmcnt(0)
	s_barrier
	buffer_gl0_inv
	s_and_saveexec_b32 s10, s2
	s_cbranch_execz .LBB50_11
; %bb.10:                               ;   in Loop: Header=BB50_3 Depth=1
	ds_load_b32 v29, v17
.LBB50_11:                              ;   in Loop: Header=BB50_3 Depth=1
	s_or_b32 exec_lo, exec_lo, s10
	s_waitcnt lgkmcnt(0)
	v_add_nc_u32_e32 v3, v29, v3
	s_add_i32 s16, s16, 8
	s_delay_alu instid0(SALU_CYCLE_1) | instskip(SKIP_3) | instid1(VALU_DEP_1)
	s_cmp_ge_u32 s16, s17
	ds_bpermute_b32 v3, v16, v3
	s_waitcnt lgkmcnt(0)
	v_cndmask_b32_e64 v3, v3, v29, s0
	v_cndmask_b32_e64 v3, v3, 0, s1
	s_delay_alu instid0(VALU_DEP_1) | instskip(NEXT) | instid1(VALU_DEP_1)
	v_add_nc_u32_e32 v4, v3, v4
	v_add_nc_u32_e32 v5, v4, v5
	s_delay_alu instid0(VALU_DEP_1) | instskip(NEXT) | instid1(VALU_DEP_1)
	v_add_nc_u32_e32 v6, v5, v6
	v_add_nc_u32_e32 v29, v6, v7
	;; [unrolled: 3-line block ×3, first 2 shown]
	s_delay_alu instid0(VALU_DEP_1)
	v_add_nc_u32_e32 v1, v0, v2
	ds_store_2addr_b64 v14, v[3:4], v[5:6] offset0:16 offset1:17
	ds_store_2addr_b64 v15, v[29:30], v[0:1] offset0:2 offset1:3
	s_waitcnt lgkmcnt(0)
	s_barrier
	buffer_gl0_inv
	ds_load_b32 v0, v28
	s_waitcnt lgkmcnt(0)
	v_add_nc_u32_e32 v1, v0, v27
	s_delay_alu instid0(VALU_DEP_1)
	v_lshlrev_b32_e32 v2, 1, v1
	s_cbranch_scc0 .LBB50_2
; %bb.12:
                                        ; implicit-def: $vgpr3
                                        ; implicit-def: $vgpr0
                                        ; implicit-def: $sgpr11
.LBB50_13:
	s_barrier
	buffer_gl0_inv
	ds_store_b16 v2, v25
	s_waitcnt lgkmcnt(0)
	s_barrier
	buffer_gl0_inv
	ds_load_u16 v0, v13
	s_mov_b32 s10, 0
	s_waitcnt lgkmcnt(0)
	s_barrier
	buffer_gl0_inv
	ds_store_b8 v1, v26
	s_waitcnt lgkmcnt(0)
	s_barrier
	s_branch .LBB50_15
.LBB50_14:
                                        ; implicit-def: $vgpr0
.LBB50_15:
	v_add_co_u32 v9, s11, s12, v13
	s_delay_alu instid0(VALU_DEP_1) | instskip(SKIP_1) | instid1(VALU_DEP_1)
	v_add_co_ci_u32_e64 v10, null, s13, 0, s11
	v_add_co_u32 v11, s11, s14, v8
	v_add_co_ci_u32_e64 v12, null, s15, 0, s11
	s_and_b32 vcc_lo, exec_lo, s10
	s_cbranch_vccz .LBB50_33
; %bb.16:
	s_mov_b32 s12, 0
	s_delay_alu instid0(SALU_CYCLE_1) | instskip(SKIP_2) | instid1(VALU_DEP_1)
	s_mov_b32 s13, s12
	v_and_b32_e32 v0, 0xff, v24
	s_mov_b32 s11, s12
	v_and_b32_e32 v5, 0xffff, v0
	s_delay_alu instid0(VALU_DEP_1)
	v_and_b32_e32 v0, 1, v5
	v_lshlrev_b32_e32 v1, 30, v5
	v_lshlrev_b32_e32 v2, 29, v5
	;; [unrolled: 1-line block ×4, first 2 shown]
	v_add_co_u32 v0, s10, v0, -1
	s_delay_alu instid0(VALU_DEP_1)
	v_cndmask_b32_e64 v4, 0, 1, s10
	v_not_b32_e32 v26, v1
	v_cmp_gt_i32_e64 s10, 0, v1
	v_not_b32_e32 v1, v2
	v_lshlrev_b32_e32 v7, 26, v5
	v_cmp_ne_u32_e32 vcc_lo, 0, v4
	v_ashrrev_i32_e32 v26, 31, v26
	v_lshlrev_b32_e32 v25, 25, v5
	v_ashrrev_i32_e32 v1, 31, v1
	v_lshlrev_b32_e32 v4, 24, v5
	v_xor_b32_e32 v0, vcc_lo, v0
	v_cmp_gt_i32_e32 vcc_lo, 0, v2
	v_not_b32_e32 v2, v3
	v_xor_b32_e32 v26, s10, v26
	v_cmp_gt_i32_e64 s10, 0, v3
	v_and_b32_e32 v0, exec_lo, v0
	v_not_b32_e32 v3, v6
	v_ashrrev_i32_e32 v2, 31, v2
	v_xor_b32_e32 v1, vcc_lo, v1
	v_cmp_gt_i32_e32 vcc_lo, 0, v6
	v_and_b32_e32 v0, v0, v26
	v_not_b32_e32 v6, v7
	v_ashrrev_i32_e32 v3, 31, v3
	v_xor_b32_e32 v2, s10, v2
	v_cmp_gt_i32_e64 s10, 0, v7
	v_and_b32_e32 v0, v0, v1
	v_not_b32_e32 v1, v25
	v_ashrrev_i32_e32 v6, 31, v6
	v_xor_b32_e32 v3, vcc_lo, v3
	v_cmp_gt_i32_e32 vcc_lo, 0, v25
	v_and_b32_e32 v0, v0, v2
	v_not_b32_e32 v2, v4
	v_ashrrev_i32_e32 v1, 31, v1
	v_xor_b32_e32 v6, s10, v6
	v_cmp_gt_i32_e64 s10, 0, v4
	v_and_b32_e32 v0, v0, v3
	v_ashrrev_i32_e32 v2, 31, v2
	v_xor_b32_e32 v1, vcc_lo, v1
	s_delay_alu instid0(VALU_DEP_3) | instskip(NEXT) | instid1(VALU_DEP_3)
	v_and_b32_e32 v0, v0, v6
	v_xor_b32_e32 v3, s10, v2
	s_mov_b32 s10, s12
	s_delay_alu instid0(VALU_DEP_2) | instskip(SKIP_1) | instid1(VALU_DEP_2)
	v_dual_mov_b32 v1, s12 :: v_dual_and_b32 v0, v0, v1
	v_mov_b32_e32 v2, s13
	v_dual_mov_b32 v3, s10 :: v_dual_and_b32 v0, v0, v3
	v_mov_b32_e32 v4, s11
	ds_store_2addr_b64 v14, v[1:2], v[3:4] offset0:16 offset1:17
	ds_store_2addr_b64 v15, v[1:2], v[3:4] offset0:2 offset1:3
	v_mbcnt_lo_u32_b32 v25, v0, 0
	v_lshlrev_b32_e32 v1, 5, v5
	v_cmp_ne_u32_e64 s10, 0, v0
	s_waitcnt lgkmcnt(0)
	s_barrier
	v_cmp_eq_u32_e32 vcc_lo, 0, v25
	v_add_lshl_u32 v26, v21, v1, 2
	buffer_gl0_inv
	; wave barrier
	s_and_b32 s11, s10, vcc_lo
	s_delay_alu instid0(SALU_CYCLE_1)
	s_and_saveexec_b32 s10, s11
	s_cbranch_execz .LBB50_18
; %bb.17:
	v_bcnt_u32_b32 v0, v0, 0
	ds_store_b32 v26, v0 offset:128
.LBB50_18:
	s_or_b32 exec_lo, exec_lo, s10
	; wave barrier
	s_waitcnt lgkmcnt(0)
	s_barrier
	buffer_gl0_inv
	ds_load_2addr_b64 v[4:7], v14 offset0:16 offset1:17
	ds_load_2addr_b64 v[0:3], v15 offset0:2 offset1:3
	s_waitcnt lgkmcnt(1)
	v_add_nc_u32_e32 v27, v5, v4
	s_delay_alu instid0(VALU_DEP_1) | instskip(SKIP_1) | instid1(VALU_DEP_1)
	v_add3_u32 v27, v27, v6, v7
	s_waitcnt lgkmcnt(0)
	v_add3_u32 v27, v27, v0, v1
	s_delay_alu instid0(VALU_DEP_1) | instskip(NEXT) | instid1(VALU_DEP_1)
	v_add3_u32 v3, v27, v2, v3
	v_mov_b32_dpp v27, v3 row_shr:1 row_mask:0xf bank_mask:0xf
	s_delay_alu instid0(VALU_DEP_1) | instskip(NEXT) | instid1(VALU_DEP_1)
	v_cndmask_b32_e64 v27, v27, 0, s7
	v_add_nc_u32_e32 v3, v27, v3
	s_delay_alu instid0(VALU_DEP_1) | instskip(NEXT) | instid1(VALU_DEP_1)
	v_mov_b32_dpp v27, v3 row_shr:2 row_mask:0xf bank_mask:0xf
	v_cndmask_b32_e64 v27, 0, v27, s6
	s_delay_alu instid0(VALU_DEP_1) | instskip(NEXT) | instid1(VALU_DEP_1)
	v_add_nc_u32_e32 v3, v3, v27
	v_mov_b32_dpp v27, v3 row_shr:4 row_mask:0xf bank_mask:0xf
	s_delay_alu instid0(VALU_DEP_1) | instskip(NEXT) | instid1(VALU_DEP_1)
	v_cndmask_b32_e64 v27, 0, v27, s5
	v_add_nc_u32_e32 v3, v3, v27
	s_delay_alu instid0(VALU_DEP_1) | instskip(NEXT) | instid1(VALU_DEP_1)
	v_mov_b32_dpp v27, v3 row_shr:8 row_mask:0xf bank_mask:0xf
	v_cndmask_b32_e64 v27, 0, v27, s4
	s_delay_alu instid0(VALU_DEP_1) | instskip(SKIP_3) | instid1(VALU_DEP_1)
	v_add_nc_u32_e32 v3, v3, v27
	ds_swizzle_b32 v27, v3 offset:swizzle(BROADCAST,32,15)
	s_waitcnt lgkmcnt(0)
	v_cndmask_b32_e64 v27, v27, 0, s3
	v_add_nc_u32_e32 v3, v3, v27
	s_and_saveexec_b32 s10, s9
	s_cbranch_execz .LBB50_20
; %bb.19:
	ds_store_b32 v19, v3
.LBB50_20:
	s_or_b32 exec_lo, exec_lo, s10
	s_waitcnt lgkmcnt(0)
	s_barrier
	buffer_gl0_inv
	s_and_saveexec_b32 s10, s8
	s_cbranch_execz .LBB50_22
; %bb.21:
	ds_load_b32 v27, v18
	s_waitcnt lgkmcnt(0)
	v_mov_b32_dpp v28, v27 row_shr:1 row_mask:0xf bank_mask:0xf
	s_delay_alu instid0(VALU_DEP_1) | instskip(NEXT) | instid1(VALU_DEP_1)
	v_cndmask_b32_e64 v28, v28, 0, s7
	v_add_nc_u32_e32 v27, v28, v27
	s_delay_alu instid0(VALU_DEP_1) | instskip(NEXT) | instid1(VALU_DEP_1)
	v_mov_b32_dpp v28, v27 row_shr:2 row_mask:0xf bank_mask:0xf
	v_cndmask_b32_e64 v28, 0, v28, s6
	s_delay_alu instid0(VALU_DEP_1) | instskip(NEXT) | instid1(VALU_DEP_1)
	v_add_nc_u32_e32 v27, v27, v28
	v_mov_b32_dpp v28, v27 row_shr:4 row_mask:0xf bank_mask:0xf
	s_delay_alu instid0(VALU_DEP_1) | instskip(NEXT) | instid1(VALU_DEP_1)
	v_cndmask_b32_e64 v28, 0, v28, s5
	v_add_nc_u32_e32 v27, v27, v28
	s_delay_alu instid0(VALU_DEP_1) | instskip(NEXT) | instid1(VALU_DEP_1)
	v_mov_b32_dpp v28, v27 row_shr:8 row_mask:0xf bank_mask:0xf
	v_cndmask_b32_e64 v28, 0, v28, s4
	s_delay_alu instid0(VALU_DEP_1) | instskip(SKIP_3) | instid1(VALU_DEP_1)
	v_add_nc_u32_e32 v27, v27, v28
	ds_swizzle_b32 v28, v27 offset:swizzle(BROADCAST,32,15)
	s_waitcnt lgkmcnt(0)
	v_cndmask_b32_e64 v28, v28, 0, s3
	v_add_nc_u32_e32 v27, v27, v28
	ds_store_b32 v18, v27
.LBB50_22:
	s_or_b32 exec_lo, exec_lo, s10
	v_mov_b32_e32 v27, 0
	s_waitcnt lgkmcnt(0)
	s_barrier
	buffer_gl0_inv
	s_and_saveexec_b32 s10, s2
	s_cbranch_execz .LBB50_24
; %bb.23:
	ds_load_b32 v27, v17
.LBB50_24:
	s_or_b32 exec_lo, exec_lo, s10
	s_mov_b32 s13, s12
	s_waitcnt lgkmcnt(0)
	v_add_nc_u32_e32 v3, v27, v3
	s_mov_b32 s14, s12
	s_mov_b32 s15, s12
	ds_bpermute_b32 v3, v16, v3
	s_waitcnt lgkmcnt(0)
	v_cndmask_b32_e64 v3, v3, v27, s0
	s_delay_alu instid0(VALU_DEP_1) | instskip(NEXT) | instid1(VALU_DEP_1)
	v_cndmask_b32_e64 v3, v3, 0, s1
	v_add_nc_u32_e32 v4, v3, v4
	s_delay_alu instid0(VALU_DEP_1) | instskip(NEXT) | instid1(VALU_DEP_1)
	v_add_nc_u32_e32 v5, v4, v5
	v_add_nc_u32_e32 v6, v5, v6
	s_delay_alu instid0(VALU_DEP_1) | instskip(NEXT) | instid1(VALU_DEP_1)
	v_add_nc_u32_e32 v27, v6, v7
	;; [unrolled: 3-line block ×3, first 2 shown]
	v_add_nc_u32_e32 v1, v0, v2
	ds_store_2addr_b64 v14, v[3:4], v[5:6] offset0:16 offset1:17
	ds_store_2addr_b64 v15, v[27:28], v[0:1] offset0:2 offset1:3
	s_waitcnt lgkmcnt(0)
	s_barrier
	buffer_gl0_inv
	ds_load_b32 v0, v26 offset:128
	s_waitcnt lgkmcnt(0)
	s_barrier
	buffer_gl0_inv
	v_add_nc_u32_e32 v0, v0, v25
	s_delay_alu instid0(VALU_DEP_1)
	v_lshlrev_b32_e32 v1, 1, v0
	ds_store_b16 v1, v24
	s_waitcnt lgkmcnt(0)
	s_barrier
	buffer_gl0_inv
	ds_load_u16 v23, v23
	s_waitcnt lgkmcnt(0)
	s_barrier
	buffer_gl0_inv
	ds_store_b8 v0, v20
	s_waitcnt lgkmcnt(0)
	s_barrier
	buffer_gl0_inv
	ds_load_u8 v20, v22
	s_waitcnt lgkmcnt(0)
	s_barrier
	buffer_gl0_inv
	v_lshrrev_b16 v1, 8, v23
	s_delay_alu instid0(VALU_DEP_1) | instskip(NEXT) | instid1(VALU_DEP_1)
	v_and_b32_e32 v5, 0xffff, v1
	v_and_b32_e32 v1, 1, v5
	v_lshlrev_b32_e32 v2, 30, v5
	v_lshlrev_b32_e32 v3, 29, v5
	;; [unrolled: 1-line block ×4, first 2 shown]
	v_add_co_u32 v1, s10, v1, -1
	s_delay_alu instid0(VALU_DEP_1)
	v_cndmask_b32_e64 v6, 0, 1, s10
	v_not_b32_e32 v26, v2
	v_cmp_gt_i32_e64 s10, 0, v2
	v_not_b32_e32 v2, v3
	v_lshlrev_b32_e32 v24, 26, v5
	v_cmp_ne_u32_e32 vcc_lo, 0, v6
	v_ashrrev_i32_e32 v26, 31, v26
	v_lshlrev_b32_e32 v25, 25, v5
	v_ashrrev_i32_e32 v2, 31, v2
	v_lshlrev_b32_e32 v6, 24, v5
	v_xor_b32_e32 v1, vcc_lo, v1
	v_cmp_gt_i32_e32 vcc_lo, 0, v3
	v_not_b32_e32 v3, v4
	v_xor_b32_e32 v26, s10, v26
	v_cmp_gt_i32_e64 s10, 0, v4
	v_and_b32_e32 v1, exec_lo, v1
	v_not_b32_e32 v4, v7
	v_ashrrev_i32_e32 v3, 31, v3
	v_xor_b32_e32 v2, vcc_lo, v2
	v_cmp_gt_i32_e32 vcc_lo, 0, v7
	v_and_b32_e32 v1, v1, v26
	v_not_b32_e32 v7, v24
	v_ashrrev_i32_e32 v4, 31, v4
	v_xor_b32_e32 v3, s10, v3
	v_cmp_gt_i32_e64 s10, 0, v24
	v_and_b32_e32 v1, v1, v2
	v_not_b32_e32 v2, v25
	v_ashrrev_i32_e32 v7, 31, v7
	v_xor_b32_e32 v4, vcc_lo, v4
	v_cmp_gt_i32_e32 vcc_lo, 0, v25
	v_and_b32_e32 v1, v1, v3
	v_not_b32_e32 v3, v6
	v_ashrrev_i32_e32 v2, 31, v2
	v_xor_b32_e32 v7, s10, v7
	v_cmp_gt_i32_e64 s10, 0, v6
	v_and_b32_e32 v1, v1, v4
	v_ashrrev_i32_e32 v3, 31, v3
	v_xor_b32_e32 v2, vcc_lo, v2
	s_delay_alu instid0(VALU_DEP_3) | instskip(NEXT) | instid1(VALU_DEP_3)
	v_and_b32_e32 v1, v1, v7
	v_xor_b32_e32 v0, s10, v3
	s_delay_alu instid0(VALU_DEP_2) | instskip(SKIP_1) | instid1(VALU_DEP_2)
	v_and_b32_e32 v3, v1, v2
	v_dual_mov_b32 v1, s12 :: v_dual_mov_b32 v2, s13
	v_dual_mov_b32 v3, s14 :: v_dual_and_b32 v0, v3, v0
	v_mov_b32_e32 v4, s15
	ds_store_2addr_b64 v14, v[1:2], v[3:4] offset0:16 offset1:17
	ds_store_2addr_b64 v15, v[1:2], v[3:4] offset0:2 offset1:3
	v_mbcnt_lo_u32_b32 v22, v0, 0
	v_lshlrev_b32_e32 v1, 5, v5
	v_cmp_ne_u32_e64 s10, 0, v0
	s_waitcnt lgkmcnt(0)
	s_barrier
	v_cmp_eq_u32_e32 vcc_lo, 0, v22
	v_add_lshl_u32 v21, v1, v21, 2
	buffer_gl0_inv
	; wave barrier
	s_and_b32 s11, s10, vcc_lo
	s_delay_alu instid0(SALU_CYCLE_1)
	s_and_saveexec_b32 s10, s11
	s_cbranch_execz .LBB50_26
; %bb.25:
	v_bcnt_u32_b32 v0, v0, 0
	ds_store_b32 v21, v0 offset:128
.LBB50_26:
	s_or_b32 exec_lo, exec_lo, s10
	; wave barrier
	s_waitcnt lgkmcnt(0)
	s_barrier
	buffer_gl0_inv
	ds_load_2addr_b64 v[4:7], v14 offset0:16 offset1:17
	ds_load_2addr_b64 v[0:3], v15 offset0:2 offset1:3
	s_waitcnt lgkmcnt(1)
	v_add_nc_u32_e32 v24, v5, v4
	s_delay_alu instid0(VALU_DEP_1) | instskip(SKIP_1) | instid1(VALU_DEP_1)
	v_add3_u32 v24, v24, v6, v7
	s_waitcnt lgkmcnt(0)
	v_add3_u32 v24, v24, v0, v1
	s_delay_alu instid0(VALU_DEP_1) | instskip(NEXT) | instid1(VALU_DEP_1)
	v_add3_u32 v3, v24, v2, v3
	v_mov_b32_dpp v24, v3 row_shr:1 row_mask:0xf bank_mask:0xf
	s_delay_alu instid0(VALU_DEP_1) | instskip(NEXT) | instid1(VALU_DEP_1)
	v_cndmask_b32_e64 v24, v24, 0, s7
	v_add_nc_u32_e32 v3, v24, v3
	s_delay_alu instid0(VALU_DEP_1) | instskip(NEXT) | instid1(VALU_DEP_1)
	v_mov_b32_dpp v24, v3 row_shr:2 row_mask:0xf bank_mask:0xf
	v_cndmask_b32_e64 v24, 0, v24, s6
	s_delay_alu instid0(VALU_DEP_1) | instskip(NEXT) | instid1(VALU_DEP_1)
	v_add_nc_u32_e32 v3, v3, v24
	v_mov_b32_dpp v24, v3 row_shr:4 row_mask:0xf bank_mask:0xf
	s_delay_alu instid0(VALU_DEP_1) | instskip(NEXT) | instid1(VALU_DEP_1)
	v_cndmask_b32_e64 v24, 0, v24, s5
	v_add_nc_u32_e32 v3, v3, v24
	s_delay_alu instid0(VALU_DEP_1) | instskip(NEXT) | instid1(VALU_DEP_1)
	v_mov_b32_dpp v24, v3 row_shr:8 row_mask:0xf bank_mask:0xf
	v_cndmask_b32_e64 v24, 0, v24, s4
	s_delay_alu instid0(VALU_DEP_1) | instskip(SKIP_3) | instid1(VALU_DEP_1)
	v_add_nc_u32_e32 v3, v3, v24
	ds_swizzle_b32 v24, v3 offset:swizzle(BROADCAST,32,15)
	s_waitcnt lgkmcnt(0)
	v_cndmask_b32_e64 v24, v24, 0, s3
	v_add_nc_u32_e32 v3, v3, v24
	s_and_saveexec_b32 s10, s9
	s_cbranch_execz .LBB50_28
; %bb.27:
	ds_store_b32 v19, v3
.LBB50_28:
	s_or_b32 exec_lo, exec_lo, s10
	s_waitcnt lgkmcnt(0)
	s_barrier
	buffer_gl0_inv
	s_and_saveexec_b32 s9, s8
	s_cbranch_execz .LBB50_30
; %bb.29:
	ds_load_b32 v19, v18
	s_waitcnt lgkmcnt(0)
	v_mov_b32_dpp v24, v19 row_shr:1 row_mask:0xf bank_mask:0xf
	s_delay_alu instid0(VALU_DEP_1) | instskip(NEXT) | instid1(VALU_DEP_1)
	v_cndmask_b32_e64 v24, v24, 0, s7
	v_add_nc_u32_e32 v19, v24, v19
	s_delay_alu instid0(VALU_DEP_1) | instskip(NEXT) | instid1(VALU_DEP_1)
	v_mov_b32_dpp v24, v19 row_shr:2 row_mask:0xf bank_mask:0xf
	v_cndmask_b32_e64 v24, 0, v24, s6
	s_delay_alu instid0(VALU_DEP_1) | instskip(NEXT) | instid1(VALU_DEP_1)
	v_add_nc_u32_e32 v19, v19, v24
	v_mov_b32_dpp v24, v19 row_shr:4 row_mask:0xf bank_mask:0xf
	s_delay_alu instid0(VALU_DEP_1) | instskip(NEXT) | instid1(VALU_DEP_1)
	v_cndmask_b32_e64 v24, 0, v24, s5
	v_add_nc_u32_e32 v19, v19, v24
	s_delay_alu instid0(VALU_DEP_1) | instskip(NEXT) | instid1(VALU_DEP_1)
	v_mov_b32_dpp v24, v19 row_shr:8 row_mask:0xf bank_mask:0xf
	v_cndmask_b32_e64 v24, 0, v24, s4
	s_delay_alu instid0(VALU_DEP_1) | instskip(SKIP_3) | instid1(VALU_DEP_1)
	v_add_nc_u32_e32 v19, v19, v24
	ds_swizzle_b32 v24, v19 offset:swizzle(BROADCAST,32,15)
	s_waitcnt lgkmcnt(0)
	v_cndmask_b32_e64 v24, v24, 0, s3
	v_add_nc_u32_e32 v19, v19, v24
	ds_store_b32 v18, v19
.LBB50_30:
	s_or_b32 exec_lo, exec_lo, s9
	v_mov_b32_e32 v18, 0
	s_waitcnt lgkmcnt(0)
	s_barrier
	buffer_gl0_inv
	s_and_saveexec_b32 s3, s2
	s_cbranch_execz .LBB50_32
; %bb.31:
	ds_load_b32 v18, v17
.LBB50_32:
	s_or_b32 exec_lo, exec_lo, s3
	s_waitcnt lgkmcnt(0)
	v_add_nc_u32_e32 v3, v18, v3
	ds_bpermute_b32 v3, v16, v3
	s_waitcnt lgkmcnt(0)
	v_cndmask_b32_e64 v3, v3, v18, s0
	s_delay_alu instid0(VALU_DEP_1) | instskip(NEXT) | instid1(VALU_DEP_1)
	v_cndmask_b32_e64 v3, v3, 0, s1
	v_add_nc_u32_e32 v4, v3, v4
	s_delay_alu instid0(VALU_DEP_1) | instskip(NEXT) | instid1(VALU_DEP_1)
	v_add_nc_u32_e32 v5, v4, v5
	v_add_nc_u32_e32 v6, v5, v6
	s_delay_alu instid0(VALU_DEP_1) | instskip(NEXT) | instid1(VALU_DEP_1)
	v_add_nc_u32_e32 v16, v6, v7
	;; [unrolled: 3-line block ×3, first 2 shown]
	v_add_nc_u32_e32 v1, v0, v2
	ds_store_2addr_b64 v14, v[3:4], v[5:6] offset0:16 offset1:17
	ds_store_2addr_b64 v15, v[16:17], v[0:1] offset0:2 offset1:3
	s_waitcnt lgkmcnt(0)
	s_barrier
	buffer_gl0_inv
	ds_load_b32 v0, v21 offset:128
	s_waitcnt lgkmcnt(0)
	s_barrier
	buffer_gl0_inv
	v_add_nc_u32_e32 v1, v0, v22
	s_delay_alu instid0(VALU_DEP_1)
	v_lshlrev_b32_e32 v0, 1, v1
	ds_store_b16 v0, v23
	s_waitcnt lgkmcnt(0)
	s_barrier
	buffer_gl0_inv
	ds_load_u16 v0, v13
	s_waitcnt lgkmcnt(0)
	s_barrier
	buffer_gl0_inv
	ds_store_b8 v1, v20
	s_waitcnt lgkmcnt(0)
	s_barrier
.LBB50_33:
	buffer_gl0_inv
	ds_load_u8 v1, v8
	v_xor_b32_e32 v0, -1, v0
	global_store_b16 v[9:10], v0, off
	s_waitcnt lgkmcnt(0)
	global_store_b8 v[11:12], v1, off
	s_nop 0
	s_sendmsg sendmsg(MSG_DEALLOC_VGPRS)
	s_endpgm
	.section	.rodata,"a",@progbits
	.p2align	6, 0x0
	.amdhsa_kernel _Z21sort_key_value_kernelILj1024ELj1ELb0ELb1EtcEvPT3_PT4_jj
		.amdhsa_group_segment_fixed_size 32896
		.amdhsa_private_segment_fixed_size 0
		.amdhsa_kernarg_size 280
		.amdhsa_user_sgpr_count 15
		.amdhsa_user_sgpr_dispatch_ptr 0
		.amdhsa_user_sgpr_queue_ptr 0
		.amdhsa_user_sgpr_kernarg_segment_ptr 1
		.amdhsa_user_sgpr_dispatch_id 0
		.amdhsa_user_sgpr_private_segment_size 0
		.amdhsa_wavefront_size32 1
		.amdhsa_uses_dynamic_stack 0
		.amdhsa_enable_private_segment 0
		.amdhsa_system_sgpr_workgroup_id_x 1
		.amdhsa_system_sgpr_workgroup_id_y 0
		.amdhsa_system_sgpr_workgroup_id_z 0
		.amdhsa_system_sgpr_workgroup_info 0
		.amdhsa_system_vgpr_workitem_id 2
		.amdhsa_next_free_vgpr 31
		.amdhsa_next_free_sgpr 20
		.amdhsa_reserve_vcc 1
		.amdhsa_float_round_mode_32 0
		.amdhsa_float_round_mode_16_64 0
		.amdhsa_float_denorm_mode_32 3
		.amdhsa_float_denorm_mode_16_64 3
		.amdhsa_dx10_clamp 1
		.amdhsa_ieee_mode 1
		.amdhsa_fp16_overflow 0
		.amdhsa_workgroup_processor_mode 1
		.amdhsa_memory_ordered 1
		.amdhsa_forward_progress 0
		.amdhsa_shared_vgpr_count 0
		.amdhsa_exception_fp_ieee_invalid_op 0
		.amdhsa_exception_fp_denorm_src 0
		.amdhsa_exception_fp_ieee_div_zero 0
		.amdhsa_exception_fp_ieee_overflow 0
		.amdhsa_exception_fp_ieee_underflow 0
		.amdhsa_exception_fp_ieee_inexact 0
		.amdhsa_exception_int_div_zero 0
	.end_amdhsa_kernel
	.section	.text._Z21sort_key_value_kernelILj1024ELj1ELb0ELb1EtcEvPT3_PT4_jj,"axG",@progbits,_Z21sort_key_value_kernelILj1024ELj1ELb0ELb1EtcEvPT3_PT4_jj,comdat
.Lfunc_end50:
	.size	_Z21sort_key_value_kernelILj1024ELj1ELb0ELb1EtcEvPT3_PT4_jj, .Lfunc_end50-_Z21sort_key_value_kernelILj1024ELj1ELb0ELb1EtcEvPT3_PT4_jj
                                        ; -- End function
	.section	.AMDGPU.csdata,"",@progbits
; Kernel info:
; codeLenInByte = 3764
; NumSgprs: 22
; NumVgprs: 31
; ScratchSize: 0
; MemoryBound: 0
; FloatMode: 240
; IeeeMode: 1
; LDSByteSize: 32896 bytes/workgroup (compile time only)
; SGPRBlocks: 2
; VGPRBlocks: 3
; NumSGPRsForWavesPerEU: 22
; NumVGPRsForWavesPerEU: 31
; Occupancy: 16
; WaveLimiterHint : 0
; COMPUTE_PGM_RSRC2:SCRATCH_EN: 0
; COMPUTE_PGM_RSRC2:USER_SGPR: 15
; COMPUTE_PGM_RSRC2:TRAP_HANDLER: 0
; COMPUTE_PGM_RSRC2:TGID_X_EN: 1
; COMPUTE_PGM_RSRC2:TGID_Y_EN: 0
; COMPUTE_PGM_RSRC2:TGID_Z_EN: 0
; COMPUTE_PGM_RSRC2:TIDIG_COMP_CNT: 2
	.section	.text._Z21sort_key_value_kernelILj256ELj1ELb0ELb0EjiEvPT3_PT4_jj,"axG",@progbits,_Z21sort_key_value_kernelILj256ELj1ELb0ELb0EjiEvPT3_PT4_jj,comdat
	.protected	_Z21sort_key_value_kernelILj256ELj1ELb0ELb0EjiEvPT3_PT4_jj ; -- Begin function _Z21sort_key_value_kernelILj256ELj1ELb0ELb0EjiEvPT3_PT4_jj
	.globl	_Z21sort_key_value_kernelILj256ELj1ELb0ELb0EjiEvPT3_PT4_jj
	.p2align	8
	.type	_Z21sort_key_value_kernelILj256ELj1ELb0ELb0EjiEvPT3_PT4_jj,@function
_Z21sort_key_value_kernelILj256ELj1ELb0ELb0EjiEvPT3_PT4_jj: ; @_Z21sort_key_value_kernelILj256ELj1ELb0ELb0EjiEvPT3_PT4_jj
; %bb.0:
	s_clause 0x1
	s_load_b128 s[4:7], s[0:1], 0x0
	s_load_b64 s[18:19], s[0:1], 0x10
	v_and_b32_e32 v1, 0x3ff, v0
	s_lshl_b32 s20, s15, 8
	s_mov_b32 s21, 0
	v_bfe_u32 v2, v0, 10, 10
	s_lshl_b64 s[2:3], s[20:21], 2
	v_lshlrev_b32_e32 v22, 2, v1
	v_bfe_u32 v0, v0, 20, 10
	v_mbcnt_lo_u32_b32 v4, -1, 0
	s_delay_alu instid0(VALU_DEP_1) | instskip(NEXT) | instid1(VALU_DEP_1)
	v_add_nc_u32_e32 v5, -1, v4
	v_cmp_gt_i32_e32 vcc_lo, 0, v5
	s_waitcnt lgkmcnt(0)
	s_add_u32 s14, s4, s2
	s_addc_u32 s15, s5, s3
	s_add_u32 s16, s6, s2
	s_addc_u32 s17, s7, s3
	s_clause 0x1
	global_load_b32 v21, v22, s[14:15]
	global_load_b32 v20, v22, s[16:17]
	s_load_b32 s0, s[0:1], 0x24
	s_cmp_eq_u32 s18, 0
	v_lshlrev_b32_e32 v13, 5, v1
	s_cselect_b32 s1, -1, 0
	s_cmp_eq_u32 s19, 32
	s_cselect_b32 s2, -1, 0
	s_delay_alu instid0(SALU_CYCLE_1)
	s_and_b32 s13, s1, s2
	v_cmp_lt_u32_e64 s2, 31, v1
	v_cmp_eq_u32_e64 s1, 0, v1
	s_waitcnt lgkmcnt(0)
	s_lshr_b32 s3, s0, 16
	s_and_b32 s0, s0, 0xffff
	v_mad_u32_u24 v0, v0, s3, v2
	v_cmp_gt_u32_e64 s3, 8, v1
	s_delay_alu instid0(VALU_DEP_2) | instskip(SKIP_3) | instid1(VALU_DEP_3)
	v_mad_u64_u32 v[2:3], null, v0, s0, v[1:2]
	v_and_b32_e32 v0, 15, v4
	v_and_b32_e32 v3, 16, v4
	v_cmp_eq_u32_e64 s0, 0, v4
	v_cmp_eq_u32_e64 s4, 0, v0
	v_lshrrev_b32_e32 v18, 5, v2
	v_and_b32_e32 v2, 0xe0, v1
	v_cmp_lt_u32_e64 s6, 1, v0
	v_cmp_lt_u32_e64 s12, 3, v0
	;; [unrolled: 1-line block ×3, first 2 shown]
	v_cndmask_b32_e32 v0, v5, v4, vcc_lo
	v_or_b32_e32 v6, 31, v2
	v_cmp_eq_u32_e64 s8, 0, v3
	v_lshrrev_b32_e32 v3, 3, v1
	v_or_b32_e32 v2, v4, v2
	v_lshlrev_b32_e32 v15, 2, v0
	v_cmp_eq_u32_e64 s9, v6, v1
	v_and_b32_e32 v0, 7, v4
	v_and_b32_e32 v17, 28, v3
	v_mul_i32_i24_e32 v1, 0xffffffe4, v1
	v_add_nc_u32_e32 v12, 32, v13
	v_lshlrev_b32_e32 v19, 2, v2
	v_cmp_eq_u32_e64 s10, 0, v0
	v_cmp_lt_u32_e64 s7, 1, v0
	v_cmp_lt_u32_e64 s5, 3, v0
	v_add_nc_u32_e32 v16, -4, v17
	v_add_nc_u32_e32 v14, v13, v1
	s_and_b32 vcc_lo, exec_lo, s13
	s_mov_b32 s13, -1
	s_cbranch_vccnz .LBB51_14
; %bb.1:
	s_mov_b32 s20, s21
	s_mov_b32 s22, s21
	;; [unrolled: 1-line block ×3, first 2 shown]
	v_dual_mov_b32 v8, s20 :: v_dual_mov_b32 v9, s21
	v_dual_mov_b32 v10, s22 :: v_dual_mov_b32 v11, s23
	s_waitcnt vmcnt(0)
	v_mov_b32_e32 v0, v20
	v_mov_b32_e32 v2, v21
	s_sub_i32 s20, s19, s18
	s_branch .LBB51_3
.LBB51_2:                               ;   in Loop: Header=BB51_3 Depth=1
	s_barrier
	buffer_gl0_inv
	ds_store_b32 v1, v23
	s_waitcnt lgkmcnt(0)
	s_barrier
	buffer_gl0_inv
	ds_load_b32 v2, v19
	s_waitcnt lgkmcnt(0)
	s_barrier
	buffer_gl0_inv
	ds_store_b32 v1, v24
	s_waitcnt lgkmcnt(0)
	s_barrier
	buffer_gl0_inv
	ds_load_b32 v0, v19
	s_add_i32 s20, s20, -8
	s_waitcnt lgkmcnt(0)
	s_barrier
	buffer_gl0_inv
	s_cbranch_execz .LBB51_13
.LBB51_3:                               ; =>This Inner Loop Header: Depth=1
	s_delay_alu instid0(VALU_DEP_1)
	v_mov_b32_e32 v23, v2
	s_min_u32 s13, s20, 8
	ds_store_2addr_b64 v13, v[8:9], v[10:11] offset0:4 offset1:5
	ds_store_2addr_b64 v12, v[8:9], v[10:11] offset0:2 offset1:3
	s_waitcnt lgkmcnt(0)
	s_barrier
	v_lshrrev_b32_e32 v1, s18, v23
	buffer_gl0_inv
	; wave barrier
	v_bfe_u32 v2, v1, 0, s13
	s_delay_alu instid0(VALU_DEP_1)
	v_lshlrev_b32_e32 v4, 29, v2
	v_and_b32_e32 v1, 1, v2
	v_lshlrev_b32_e32 v3, 30, v2
	v_lshlrev_b32_e32 v5, 28, v2
	;; [unrolled: 1-line block ×4, first 2 shown]
	v_add_co_u32 v1, s13, v1, -1
	s_delay_alu instid0(VALU_DEP_1)
	v_cndmask_b32_e64 v6, 0, 1, s13
	v_not_b32_e32 v26, v3
	v_cmp_gt_i32_e64 s13, 0, v3
	v_not_b32_e32 v3, v4
	v_lshlrev_b32_e32 v25, 25, v2
	v_cmp_ne_u32_e32 vcc_lo, 0, v6
	v_ashrrev_i32_e32 v26, 31, v26
	v_lshlrev_b32_e32 v6, 24, v2
	v_ashrrev_i32_e32 v3, 31, v3
	v_xor_b32_e32 v1, vcc_lo, v1
	v_cmp_gt_i32_e32 vcc_lo, 0, v4
	v_not_b32_e32 v4, v5
	v_xor_b32_e32 v26, s13, v26
	v_cmp_gt_i32_e64 s13, 0, v5
	v_and_b32_e32 v1, exec_lo, v1
	v_not_b32_e32 v5, v7
	v_ashrrev_i32_e32 v4, 31, v4
	v_xor_b32_e32 v3, vcc_lo, v3
	v_cmp_gt_i32_e32 vcc_lo, 0, v7
	v_and_b32_e32 v1, v1, v26
	v_not_b32_e32 v7, v24
	v_ashrrev_i32_e32 v5, 31, v5
	v_xor_b32_e32 v4, s13, v4
	v_cmp_gt_i32_e64 s13, 0, v24
	v_dual_mov_b32 v24, v0 :: v_dual_and_b32 v1, v1, v3
	v_not_b32_e32 v3, v25
	v_ashrrev_i32_e32 v7, 31, v7
	v_xor_b32_e32 v5, vcc_lo, v5
	v_cmp_gt_i32_e32 vcc_lo, 0, v25
	v_and_b32_e32 v1, v1, v4
	v_not_b32_e32 v4, v6
	v_ashrrev_i32_e32 v3, 31, v3
	v_xor_b32_e32 v7, s13, v7
	v_cmp_gt_i32_e64 s13, 0, v6
	v_and_b32_e32 v1, v1, v5
	v_ashrrev_i32_e32 v4, 31, v4
	v_xor_b32_e32 v3, vcc_lo, v3
	v_lshl_add_u32 v0, v2, 3, v18
	s_delay_alu instid0(VALU_DEP_4) | instskip(NEXT) | instid1(VALU_DEP_4)
	v_and_b32_e32 v1, v1, v7
	v_xor_b32_e32 v4, s13, v4
	s_delay_alu instid0(VALU_DEP_3) | instskip(NEXT) | instid1(VALU_DEP_3)
	v_lshl_add_u32 v26, v0, 2, 32
	v_and_b32_e32 v1, v1, v3
	s_delay_alu instid0(VALU_DEP_1) | instskip(NEXT) | instid1(VALU_DEP_1)
	v_and_b32_e32 v1, v1, v4
	v_mbcnt_lo_u32_b32 v25, v1, 0
	v_cmp_ne_u32_e64 s13, 0, v1
	s_delay_alu instid0(VALU_DEP_2) | instskip(NEXT) | instid1(VALU_DEP_2)
	v_cmp_eq_u32_e32 vcc_lo, 0, v25
	s_and_b32 s21, s13, vcc_lo
	s_delay_alu instid0(SALU_CYCLE_1)
	s_and_saveexec_b32 s13, s21
	s_cbranch_execz .LBB51_5
; %bb.4:                                ;   in Loop: Header=BB51_3 Depth=1
	v_bcnt_u32_b32 v0, v1, 0
	ds_store_b32 v26, v0
.LBB51_5:                               ;   in Loop: Header=BB51_3 Depth=1
	s_or_b32 exec_lo, exec_lo, s13
	; wave barrier
	s_waitcnt lgkmcnt(0)
	s_barrier
	buffer_gl0_inv
	ds_load_2addr_b64 v[4:7], v13 offset0:4 offset1:5
	ds_load_2addr_b64 v[0:3], v12 offset0:2 offset1:3
	s_waitcnt lgkmcnt(1)
	v_add_nc_u32_e32 v27, v5, v4
	s_delay_alu instid0(VALU_DEP_1) | instskip(SKIP_1) | instid1(VALU_DEP_1)
	v_add3_u32 v27, v27, v6, v7
	s_waitcnt lgkmcnt(0)
	v_add3_u32 v27, v27, v0, v1
	s_delay_alu instid0(VALU_DEP_1) | instskip(NEXT) | instid1(VALU_DEP_1)
	v_add3_u32 v3, v27, v2, v3
	v_mov_b32_dpp v27, v3 row_shr:1 row_mask:0xf bank_mask:0xf
	s_delay_alu instid0(VALU_DEP_1) | instskip(NEXT) | instid1(VALU_DEP_1)
	v_cndmask_b32_e64 v27, v27, 0, s4
	v_add_nc_u32_e32 v3, v27, v3
	s_delay_alu instid0(VALU_DEP_1) | instskip(NEXT) | instid1(VALU_DEP_1)
	v_mov_b32_dpp v27, v3 row_shr:2 row_mask:0xf bank_mask:0xf
	v_cndmask_b32_e64 v27, 0, v27, s6
	s_delay_alu instid0(VALU_DEP_1) | instskip(NEXT) | instid1(VALU_DEP_1)
	v_add_nc_u32_e32 v3, v3, v27
	v_mov_b32_dpp v27, v3 row_shr:4 row_mask:0xf bank_mask:0xf
	s_delay_alu instid0(VALU_DEP_1) | instskip(NEXT) | instid1(VALU_DEP_1)
	v_cndmask_b32_e64 v27, 0, v27, s12
	v_add_nc_u32_e32 v3, v3, v27
	s_delay_alu instid0(VALU_DEP_1) | instskip(NEXT) | instid1(VALU_DEP_1)
	v_mov_b32_dpp v27, v3 row_shr:8 row_mask:0xf bank_mask:0xf
	v_cndmask_b32_e64 v27, 0, v27, s11
	s_delay_alu instid0(VALU_DEP_1) | instskip(SKIP_3) | instid1(VALU_DEP_1)
	v_add_nc_u32_e32 v3, v3, v27
	ds_swizzle_b32 v27, v3 offset:swizzle(BROADCAST,32,15)
	s_waitcnt lgkmcnt(0)
	v_cndmask_b32_e64 v27, v27, 0, s8
	v_add_nc_u32_e32 v3, v3, v27
	s_and_saveexec_b32 s13, s9
	s_cbranch_execz .LBB51_7
; %bb.6:                                ;   in Loop: Header=BB51_3 Depth=1
	ds_store_b32 v17, v3
.LBB51_7:                               ;   in Loop: Header=BB51_3 Depth=1
	s_or_b32 exec_lo, exec_lo, s13
	s_waitcnt lgkmcnt(0)
	s_barrier
	buffer_gl0_inv
	s_and_saveexec_b32 s13, s3
	s_cbranch_execz .LBB51_9
; %bb.8:                                ;   in Loop: Header=BB51_3 Depth=1
	ds_load_b32 v27, v14
	s_waitcnt lgkmcnt(0)
	v_mov_b32_dpp v28, v27 row_shr:1 row_mask:0xf bank_mask:0xf
	s_delay_alu instid0(VALU_DEP_1) | instskip(NEXT) | instid1(VALU_DEP_1)
	v_cndmask_b32_e64 v28, v28, 0, s10
	v_add_nc_u32_e32 v27, v28, v27
	s_delay_alu instid0(VALU_DEP_1) | instskip(NEXT) | instid1(VALU_DEP_1)
	v_mov_b32_dpp v28, v27 row_shr:2 row_mask:0xf bank_mask:0xf
	v_cndmask_b32_e64 v28, 0, v28, s7
	s_delay_alu instid0(VALU_DEP_1) | instskip(NEXT) | instid1(VALU_DEP_1)
	v_add_nc_u32_e32 v27, v27, v28
	v_mov_b32_dpp v28, v27 row_shr:4 row_mask:0xf bank_mask:0xf
	s_delay_alu instid0(VALU_DEP_1) | instskip(NEXT) | instid1(VALU_DEP_1)
	v_cndmask_b32_e64 v28, 0, v28, s5
	v_add_nc_u32_e32 v27, v27, v28
	ds_store_b32 v14, v27
.LBB51_9:                               ;   in Loop: Header=BB51_3 Depth=1
	s_or_b32 exec_lo, exec_lo, s13
	v_mov_b32_e32 v27, 0
	s_waitcnt lgkmcnt(0)
	s_barrier
	buffer_gl0_inv
	s_and_saveexec_b32 s13, s2
	s_cbranch_execz .LBB51_11
; %bb.10:                               ;   in Loop: Header=BB51_3 Depth=1
	ds_load_b32 v27, v16
.LBB51_11:                              ;   in Loop: Header=BB51_3 Depth=1
	s_or_b32 exec_lo, exec_lo, s13
	s_waitcnt lgkmcnt(0)
	v_add_nc_u32_e32 v3, v27, v3
	s_add_i32 s18, s18, 8
	s_delay_alu instid0(SALU_CYCLE_1) | instskip(SKIP_3) | instid1(VALU_DEP_1)
	s_cmp_ge_u32 s18, s19
	ds_bpermute_b32 v3, v15, v3
	s_waitcnt lgkmcnt(0)
	v_cndmask_b32_e64 v3, v3, v27, s0
	v_cndmask_b32_e64 v3, v3, 0, s1
	s_delay_alu instid0(VALU_DEP_1) | instskip(NEXT) | instid1(VALU_DEP_1)
	v_add_nc_u32_e32 v4, v3, v4
	v_add_nc_u32_e32 v5, v4, v5
	s_delay_alu instid0(VALU_DEP_1) | instskip(NEXT) | instid1(VALU_DEP_1)
	v_add_nc_u32_e32 v6, v5, v6
	v_add_nc_u32_e32 v27, v6, v7
	;; [unrolled: 3-line block ×3, first 2 shown]
	s_delay_alu instid0(VALU_DEP_1)
	v_add_nc_u32_e32 v1, v0, v2
	ds_store_2addr_b64 v13, v[3:4], v[5:6] offset0:4 offset1:5
	ds_store_2addr_b64 v12, v[27:28], v[0:1] offset0:2 offset1:3
	s_waitcnt lgkmcnt(0)
	s_barrier
	buffer_gl0_inv
	ds_load_b32 v0, v26
	v_lshlrev_b32_e32 v1, 2, v25
	s_waitcnt lgkmcnt(0)
	s_delay_alu instid0(VALU_DEP_1)
	v_lshl_add_u32 v1, v0, 2, v1
	s_cbranch_scc0 .LBB51_2
; %bb.12:
                                        ; implicit-def: $vgpr2
                                        ; implicit-def: $vgpr0
                                        ; implicit-def: $sgpr20
.LBB51_13:
	s_barrier
	buffer_gl0_inv
	ds_store_b32 v1, v23
	s_waitcnt lgkmcnt(0)
	s_barrier
	buffer_gl0_inv
	ds_load_b32 v0, v14
	s_mov_b32 s13, 0
	s_waitcnt lgkmcnt(0)
	s_barrier
	buffer_gl0_inv
	ds_store_b32 v1, v24
	s_waitcnt lgkmcnt(0)
	s_barrier
	s_branch .LBB51_15
.LBB51_14:
                                        ; implicit-def: $vgpr0
.LBB51_15:
	v_add_co_u32 v8, s14, s14, v22
	s_delay_alu instid0(VALU_DEP_1) | instskip(SKIP_1) | instid1(VALU_DEP_1)
	v_add_co_ci_u32_e64 v9, null, s15, 0, s14
	v_add_co_u32 v10, s14, s16, v22
	v_add_co_ci_u32_e64 v11, null, s17, 0, s14
	s_and_b32 vcc_lo, exec_lo, s13
	s_cbranch_vccz .LBB51_49
; %bb.16:
	s_waitcnt vmcnt(1)
	v_and_b32_e32 v0, 1, v21
	v_lshlrev_b32_e32 v1, 30, v21
	v_lshlrev_b32_e32 v2, 29, v21
	;; [unrolled: 1-line block ×4, first 2 shown]
	v_add_co_u32 v0, s13, v0, -1
	s_delay_alu instid0(VALU_DEP_1)
	v_cndmask_b32_e64 v3, 0, 1, s13
	v_not_b32_e32 v7, v1
	v_cmp_gt_i32_e64 s13, 0, v1
	v_not_b32_e32 v1, v2
	v_lshlrev_b32_e32 v6, 26, v21
	v_cmp_ne_u32_e32 vcc_lo, 0, v3
	v_ashrrev_i32_e32 v7, 31, v7
	v_lshlrev_b32_e32 v3, 25, v21
	v_ashrrev_i32_e32 v1, 31, v1
	v_cmp_gt_i32_e64 s14, 0, v5
	v_xor_b32_e32 v0, vcc_lo, v0
	v_cmp_gt_i32_e32 vcc_lo, 0, v2
	v_not_b32_e32 v2, v4
	v_xor_b32_e32 v7, s13, v7
	v_cmp_gt_i32_e64 s13, 0, v4
	v_and_b32_e32 v0, exec_lo, v0
	v_xor_b32_e32 v1, vcc_lo, v1
	v_ashrrev_i32_e32 v2, 31, v2
	v_not_b32_e32 v4, v5
	v_not_b32_e32 v5, v6
	v_and_b32_e32 v0, v0, v7
	v_cmp_gt_i32_e32 vcc_lo, 0, v6
	v_xor_b32_e32 v2, s13, v2
	v_not_b32_e32 v6, v3
	s_delay_alu instid0(VALU_DEP_4) | instskip(SKIP_3) | instid1(VALU_DEP_4)
	v_and_b32_e32 v0, v0, v1
	v_ashrrev_i32_e32 v1, 31, v4
	v_ashrrev_i32_e32 v4, 31, v5
	v_lshlrev_b32_e32 v5, 24, v21
	v_and_b32_e32 v0, v0, v2
	s_delay_alu instid0(VALU_DEP_4) | instskip(NEXT) | instid1(VALU_DEP_4)
	v_xor_b32_e32 v1, s14, v1
	v_xor_b32_e32 v2, vcc_lo, v4
	v_cmp_gt_i32_e32 vcc_lo, 0, v3
	v_not_b32_e32 v3, v5
	v_ashrrev_i32_e32 v4, 31, v6
	v_and_b32_e32 v0, v0, v1
	v_cmp_gt_i32_e64 s13, 0, v5
	v_and_b32_e32 v5, 0xff, v21
	v_ashrrev_i32_e32 v1, 31, v3
	v_xor_b32_e32 v3, vcc_lo, v4
	v_and_b32_e32 v0, v0, v2
	s_mov_b32 s14, 0
	v_lshlrev_b32_e32 v5, 3, v5
	v_xor_b32_e32 v1, s13, v1
	s_mov_b32 s16, s14
	v_and_b32_e32 v0, v0, v3
	s_mov_b32 s15, s14
	s_mov_b32 s17, s14
	s_delay_alu instid0(SALU_CYCLE_1) | instskip(NEXT) | instid1(VALU_DEP_2)
	v_dual_mov_b32 v3, s16 :: v_dual_mov_b32 v4, s17
	v_dual_mov_b32 v1, s14 :: v_dual_and_b32 v0, v0, v1
	v_mov_b32_e32 v2, s15
	v_add_lshl_u32 v23, v5, v18, 2
	ds_store_2addr_b64 v13, v[1:2], v[3:4] offset0:4 offset1:5
	ds_store_2addr_b64 v12, v[1:2], v[3:4] offset0:2 offset1:3
	v_mbcnt_lo_u32_b32 v22, v0, 0
	v_cmp_ne_u32_e64 s13, 0, v0
	s_waitcnt vmcnt(0) lgkmcnt(0)
	s_barrier
	buffer_gl0_inv
	v_cmp_eq_u32_e32 vcc_lo, 0, v22
	; wave barrier
	s_and_b32 s14, s13, vcc_lo
	s_delay_alu instid0(SALU_CYCLE_1)
	s_and_saveexec_b32 s13, s14
	s_cbranch_execz .LBB51_18
; %bb.17:
	v_bcnt_u32_b32 v0, v0, 0
	ds_store_b32 v23, v0 offset:32
.LBB51_18:
	s_or_b32 exec_lo, exec_lo, s13
	; wave barrier
	s_waitcnt lgkmcnt(0)
	s_barrier
	buffer_gl0_inv
	ds_load_2addr_b64 v[4:7], v13 offset0:4 offset1:5
	ds_load_2addr_b64 v[0:3], v12 offset0:2 offset1:3
	s_waitcnt lgkmcnt(1)
	v_add_nc_u32_e32 v24, v5, v4
	s_delay_alu instid0(VALU_DEP_1) | instskip(SKIP_1) | instid1(VALU_DEP_1)
	v_add3_u32 v24, v24, v6, v7
	s_waitcnt lgkmcnt(0)
	v_add3_u32 v24, v24, v0, v1
	s_delay_alu instid0(VALU_DEP_1) | instskip(NEXT) | instid1(VALU_DEP_1)
	v_add3_u32 v3, v24, v2, v3
	v_mov_b32_dpp v24, v3 row_shr:1 row_mask:0xf bank_mask:0xf
	s_delay_alu instid0(VALU_DEP_1) | instskip(NEXT) | instid1(VALU_DEP_1)
	v_cndmask_b32_e64 v24, v24, 0, s4
	v_add_nc_u32_e32 v3, v24, v3
	s_delay_alu instid0(VALU_DEP_1) | instskip(NEXT) | instid1(VALU_DEP_1)
	v_mov_b32_dpp v24, v3 row_shr:2 row_mask:0xf bank_mask:0xf
	v_cndmask_b32_e64 v24, 0, v24, s6
	s_delay_alu instid0(VALU_DEP_1) | instskip(NEXT) | instid1(VALU_DEP_1)
	v_add_nc_u32_e32 v3, v3, v24
	v_mov_b32_dpp v24, v3 row_shr:4 row_mask:0xf bank_mask:0xf
	s_delay_alu instid0(VALU_DEP_1) | instskip(NEXT) | instid1(VALU_DEP_1)
	v_cndmask_b32_e64 v24, 0, v24, s12
	v_add_nc_u32_e32 v3, v3, v24
	s_delay_alu instid0(VALU_DEP_1) | instskip(NEXT) | instid1(VALU_DEP_1)
	v_mov_b32_dpp v24, v3 row_shr:8 row_mask:0xf bank_mask:0xf
	v_cndmask_b32_e64 v24, 0, v24, s11
	s_delay_alu instid0(VALU_DEP_1) | instskip(SKIP_3) | instid1(VALU_DEP_1)
	v_add_nc_u32_e32 v3, v3, v24
	ds_swizzle_b32 v24, v3 offset:swizzle(BROADCAST,32,15)
	s_waitcnt lgkmcnt(0)
	v_cndmask_b32_e64 v24, v24, 0, s8
	v_add_nc_u32_e32 v3, v3, v24
	s_and_saveexec_b32 s13, s9
	s_cbranch_execz .LBB51_20
; %bb.19:
	ds_store_b32 v17, v3
.LBB51_20:
	s_or_b32 exec_lo, exec_lo, s13
	s_waitcnt lgkmcnt(0)
	s_barrier
	buffer_gl0_inv
	s_and_saveexec_b32 s13, s3
	s_cbranch_execz .LBB51_22
; %bb.21:
	ds_load_b32 v24, v14
	s_waitcnt lgkmcnt(0)
	v_mov_b32_dpp v25, v24 row_shr:1 row_mask:0xf bank_mask:0xf
	s_delay_alu instid0(VALU_DEP_1) | instskip(NEXT) | instid1(VALU_DEP_1)
	v_cndmask_b32_e64 v25, v25, 0, s10
	v_add_nc_u32_e32 v24, v25, v24
	s_delay_alu instid0(VALU_DEP_1) | instskip(NEXT) | instid1(VALU_DEP_1)
	v_mov_b32_dpp v25, v24 row_shr:2 row_mask:0xf bank_mask:0xf
	v_cndmask_b32_e64 v25, 0, v25, s7
	s_delay_alu instid0(VALU_DEP_1) | instskip(NEXT) | instid1(VALU_DEP_1)
	v_add_nc_u32_e32 v24, v24, v25
	v_mov_b32_dpp v25, v24 row_shr:4 row_mask:0xf bank_mask:0xf
	s_delay_alu instid0(VALU_DEP_1) | instskip(NEXT) | instid1(VALU_DEP_1)
	v_cndmask_b32_e64 v25, 0, v25, s5
	v_add_nc_u32_e32 v24, v24, v25
	ds_store_b32 v14, v24
.LBB51_22:
	s_or_b32 exec_lo, exec_lo, s13
	v_mov_b32_e32 v24, 0
	s_waitcnt lgkmcnt(0)
	s_barrier
	buffer_gl0_inv
	s_and_saveexec_b32 s13, s2
	s_cbranch_execz .LBB51_24
; %bb.23:
	ds_load_b32 v24, v16
.LBB51_24:
	s_or_b32 exec_lo, exec_lo, s13
	s_mov_b32 s16, 0
	s_delay_alu instid0(SALU_CYCLE_1)
	s_mov_b32 s17, s16
	s_waitcnt lgkmcnt(0)
	v_add_nc_u32_e32 v3, v24, v3
	s_mov_b32 s14, s16
	s_mov_b32 s15, s16
	ds_bpermute_b32 v3, v15, v3
	s_waitcnt lgkmcnt(0)
	v_cndmask_b32_e64 v3, v3, v24, s0
	s_delay_alu instid0(VALU_DEP_1) | instskip(NEXT) | instid1(VALU_DEP_1)
	v_cndmask_b32_e64 v3, v3, 0, s1
	v_add_nc_u32_e32 v4, v3, v4
	s_delay_alu instid0(VALU_DEP_1) | instskip(NEXT) | instid1(VALU_DEP_1)
	v_add_nc_u32_e32 v5, v4, v5
	v_add_nc_u32_e32 v6, v5, v6
	s_delay_alu instid0(VALU_DEP_1) | instskip(NEXT) | instid1(VALU_DEP_1)
	v_add_nc_u32_e32 v24, v6, v7
	;; [unrolled: 3-line block ×3, first 2 shown]
	v_add_nc_u32_e32 v1, v0, v2
	ds_store_2addr_b64 v13, v[3:4], v[5:6] offset0:4 offset1:5
	ds_store_2addr_b64 v12, v[24:25], v[0:1] offset0:2 offset1:3
	s_waitcnt lgkmcnt(0)
	s_barrier
	buffer_gl0_inv
	ds_load_b32 v0, v23 offset:32
	v_lshlrev_b32_e32 v1, 2, v22
	s_waitcnt lgkmcnt(0)
	s_barrier
	buffer_gl0_inv
	v_lshl_add_u32 v0, v0, 2, v1
	v_dual_mov_b32 v1, s16 :: v_dual_mov_b32 v2, s17
	ds_store_b32 v0, v21
	s_waitcnt lgkmcnt(0)
	s_barrier
	buffer_gl0_inv
	ds_load_b32 v21, v19
	s_waitcnt lgkmcnt(0)
	s_barrier
	buffer_gl0_inv
	ds_store_b32 v0, v20
	s_waitcnt lgkmcnt(0)
	s_barrier
	buffer_gl0_inv
	v_bfe_u32 v3, v21, 8, 1
	v_lshrrev_b32_e32 v4, 8, v21
	s_delay_alu instid0(VALU_DEP_2) | instskip(NEXT) | instid1(VALU_DEP_1)
	v_add_co_u32 v3, s13, v3, -1
	v_cndmask_b32_e64 v5, 0, 1, s13
	s_delay_alu instid0(VALU_DEP_3)
	v_lshlrev_b32_e32 v6, 30, v4
	v_lshlrev_b32_e32 v7, 29, v4
	;; [unrolled: 1-line block ×4, first 2 shown]
	v_cmp_ne_u32_e32 vcc_lo, 0, v5
	v_not_b32_e32 v5, v6
	v_cmp_gt_i32_e64 s13, 0, v6
	v_not_b32_e32 v6, v7
	v_lshlrev_b32_e32 v24, 26, v4
	v_xor_b32_e32 v3, vcc_lo, v3
	v_ashrrev_i32_e32 v5, 31, v5
	v_cmp_gt_i32_e32 vcc_lo, 0, v7
	v_not_b32_e32 v7, v22
	v_ashrrev_i32_e32 v6, 31, v6
	v_and_b32_e32 v3, exec_lo, v3
	v_xor_b32_e32 v5, s13, v5
	v_cmp_gt_i32_e64 s13, 0, v22
	v_not_b32_e32 v22, v23
	v_ashrrev_i32_e32 v7, 31, v7
	v_xor_b32_e32 v6, vcc_lo, v6
	v_and_b32_e32 v3, v3, v5
	v_lshlrev_b32_e32 v25, 25, v4
	v_cmp_gt_i32_e32 vcc_lo, 0, v23
	v_not_b32_e32 v5, v24
	v_ashrrev_i32_e32 v22, 31, v22
	v_xor_b32_e32 v7, s13, v7
	v_and_b32_e32 v3, v3, v6
	v_lshlrev_b32_e32 v4, 24, v4
	v_cmp_gt_i32_e64 s13, 0, v24
	v_not_b32_e32 v6, v25
	v_ashrrev_i32_e32 v5, 31, v5
	v_xor_b32_e32 v22, vcc_lo, v22
	v_and_b32_e32 v3, v3, v7
	v_cmp_gt_i32_e32 vcc_lo, 0, v25
	v_not_b32_e32 v7, v4
	v_ashrrev_i32_e32 v6, 31, v6
	v_xor_b32_e32 v5, s13, v5
	v_and_b32_e32 v3, v3, v22
	v_cmp_gt_i32_e64 s13, 0, v4
	v_ashrrev_i32_e32 v4, 31, v7
	v_xor_b32_e32 v6, vcc_lo, v6
	ds_load_b32 v22, v19
	v_and_b32_e32 v3, v3, v5
	s_waitcnt lgkmcnt(0)
	v_xor_b32_e32 v0, s13, v4
	s_barrier
	buffer_gl0_inv
	v_and_b32_e32 v5, v3, v6
	v_dual_mov_b32 v3, s14 :: v_dual_mov_b32 v4, s15
	ds_store_2addr_b64 v13, v[1:2], v[3:4] offset0:4 offset1:5
	ds_store_2addr_b64 v12, v[1:2], v[3:4] offset0:2 offset1:3
	v_and_b32_e32 v0, v5, v0
	v_lshrrev_b32_e32 v5, 5, v21
	s_waitcnt lgkmcnt(0)
	s_barrier
	buffer_gl0_inv
	v_mbcnt_lo_u32_b32 v20, v0, 0
	v_and_b32_e32 v1, 0x7f8, v5
	v_cmp_ne_u32_e64 s13, 0, v0
	; wave barrier
	s_delay_alu instid0(VALU_DEP_3) | instskip(NEXT) | instid1(VALU_DEP_3)
	v_cmp_eq_u32_e32 vcc_lo, 0, v20
	v_add_lshl_u32 v23, v1, v18, 2
	s_delay_alu instid0(VALU_DEP_3) | instskip(NEXT) | instid1(SALU_CYCLE_1)
	s_and_b32 s14, s13, vcc_lo
	s_and_saveexec_b32 s13, s14
	s_cbranch_execz .LBB51_26
; %bb.25:
	v_bcnt_u32_b32 v0, v0, 0
	ds_store_b32 v23, v0 offset:32
.LBB51_26:
	s_or_b32 exec_lo, exec_lo, s13
	; wave barrier
	s_waitcnt lgkmcnt(0)
	s_barrier
	buffer_gl0_inv
	ds_load_2addr_b64 v[4:7], v13 offset0:4 offset1:5
	ds_load_2addr_b64 v[0:3], v12 offset0:2 offset1:3
	s_waitcnt lgkmcnt(1)
	v_add_nc_u32_e32 v24, v5, v4
	s_delay_alu instid0(VALU_DEP_1) | instskip(SKIP_1) | instid1(VALU_DEP_1)
	v_add3_u32 v24, v24, v6, v7
	s_waitcnt lgkmcnt(0)
	v_add3_u32 v24, v24, v0, v1
	s_delay_alu instid0(VALU_DEP_1) | instskip(NEXT) | instid1(VALU_DEP_1)
	v_add3_u32 v3, v24, v2, v3
	v_mov_b32_dpp v24, v3 row_shr:1 row_mask:0xf bank_mask:0xf
	s_delay_alu instid0(VALU_DEP_1) | instskip(NEXT) | instid1(VALU_DEP_1)
	v_cndmask_b32_e64 v24, v24, 0, s4
	v_add_nc_u32_e32 v3, v24, v3
	s_delay_alu instid0(VALU_DEP_1) | instskip(NEXT) | instid1(VALU_DEP_1)
	v_mov_b32_dpp v24, v3 row_shr:2 row_mask:0xf bank_mask:0xf
	v_cndmask_b32_e64 v24, 0, v24, s6
	s_delay_alu instid0(VALU_DEP_1) | instskip(NEXT) | instid1(VALU_DEP_1)
	v_add_nc_u32_e32 v3, v3, v24
	v_mov_b32_dpp v24, v3 row_shr:4 row_mask:0xf bank_mask:0xf
	s_delay_alu instid0(VALU_DEP_1) | instskip(NEXT) | instid1(VALU_DEP_1)
	v_cndmask_b32_e64 v24, 0, v24, s12
	v_add_nc_u32_e32 v3, v3, v24
	s_delay_alu instid0(VALU_DEP_1) | instskip(NEXT) | instid1(VALU_DEP_1)
	v_mov_b32_dpp v24, v3 row_shr:8 row_mask:0xf bank_mask:0xf
	v_cndmask_b32_e64 v24, 0, v24, s11
	s_delay_alu instid0(VALU_DEP_1) | instskip(SKIP_3) | instid1(VALU_DEP_1)
	v_add_nc_u32_e32 v3, v3, v24
	ds_swizzle_b32 v24, v3 offset:swizzle(BROADCAST,32,15)
	s_waitcnt lgkmcnt(0)
	v_cndmask_b32_e64 v24, v24, 0, s8
	v_add_nc_u32_e32 v3, v3, v24
	s_and_saveexec_b32 s13, s9
	s_cbranch_execz .LBB51_28
; %bb.27:
	ds_store_b32 v17, v3
.LBB51_28:
	s_or_b32 exec_lo, exec_lo, s13
	s_waitcnt lgkmcnt(0)
	s_barrier
	buffer_gl0_inv
	s_and_saveexec_b32 s13, s3
	s_cbranch_execz .LBB51_30
; %bb.29:
	ds_load_b32 v24, v14
	s_waitcnt lgkmcnt(0)
	v_mov_b32_dpp v25, v24 row_shr:1 row_mask:0xf bank_mask:0xf
	s_delay_alu instid0(VALU_DEP_1) | instskip(NEXT) | instid1(VALU_DEP_1)
	v_cndmask_b32_e64 v25, v25, 0, s10
	v_add_nc_u32_e32 v24, v25, v24
	s_delay_alu instid0(VALU_DEP_1) | instskip(NEXT) | instid1(VALU_DEP_1)
	v_mov_b32_dpp v25, v24 row_shr:2 row_mask:0xf bank_mask:0xf
	v_cndmask_b32_e64 v25, 0, v25, s7
	s_delay_alu instid0(VALU_DEP_1) | instskip(NEXT) | instid1(VALU_DEP_1)
	v_add_nc_u32_e32 v24, v24, v25
	v_mov_b32_dpp v25, v24 row_shr:4 row_mask:0xf bank_mask:0xf
	s_delay_alu instid0(VALU_DEP_1) | instskip(NEXT) | instid1(VALU_DEP_1)
	v_cndmask_b32_e64 v25, 0, v25, s5
	v_add_nc_u32_e32 v24, v24, v25
	ds_store_b32 v14, v24
.LBB51_30:
	s_or_b32 exec_lo, exec_lo, s13
	v_mov_b32_e32 v24, 0
	s_waitcnt lgkmcnt(0)
	s_barrier
	buffer_gl0_inv
	s_and_saveexec_b32 s13, s2
	s_cbranch_execz .LBB51_32
; %bb.31:
	ds_load_b32 v24, v16
.LBB51_32:
	s_or_b32 exec_lo, exec_lo, s13
	s_mov_b32 s17, s16
	s_waitcnt lgkmcnt(0)
	v_add_nc_u32_e32 v3, v24, v3
	s_mov_b32 s14, s16
	s_mov_b32 s15, s16
	ds_bpermute_b32 v3, v15, v3
	s_waitcnt lgkmcnt(0)
	v_cndmask_b32_e64 v3, v3, v24, s0
	s_delay_alu instid0(VALU_DEP_1) | instskip(NEXT) | instid1(VALU_DEP_1)
	v_cndmask_b32_e64 v3, v3, 0, s1
	v_add_nc_u32_e32 v4, v3, v4
	s_delay_alu instid0(VALU_DEP_1) | instskip(NEXT) | instid1(VALU_DEP_1)
	v_add_nc_u32_e32 v5, v4, v5
	v_add_nc_u32_e32 v6, v5, v6
	s_delay_alu instid0(VALU_DEP_1) | instskip(NEXT) | instid1(VALU_DEP_1)
	v_add_nc_u32_e32 v24, v6, v7
	;; [unrolled: 3-line block ×3, first 2 shown]
	v_add_nc_u32_e32 v1, v0, v2
	ds_store_2addr_b64 v13, v[3:4], v[5:6] offset0:4 offset1:5
	ds_store_2addr_b64 v12, v[24:25], v[0:1] offset0:2 offset1:3
	s_waitcnt lgkmcnt(0)
	s_barrier
	buffer_gl0_inv
	ds_load_b32 v0, v23 offset:32
	v_lshlrev_b32_e32 v1, 2, v20
	s_waitcnt lgkmcnt(0)
	s_barrier
	buffer_gl0_inv
	v_lshl_add_u32 v0, v0, 2, v1
	v_dual_mov_b32 v1, s16 :: v_dual_mov_b32 v2, s17
	ds_store_b32 v0, v21
	s_waitcnt lgkmcnt(0)
	s_barrier
	buffer_gl0_inv
	ds_load_b32 v20, v19
	s_waitcnt lgkmcnt(0)
	s_barrier
	buffer_gl0_inv
	ds_store_b32 v0, v22
	s_waitcnt lgkmcnt(0)
	s_barrier
	buffer_gl0_inv
	v_bfe_u32 v3, v20, 16, 1
	v_lshrrev_b32_e32 v4, 16, v20
	s_delay_alu instid0(VALU_DEP_2) | instskip(NEXT) | instid1(VALU_DEP_1)
	v_add_co_u32 v3, s13, v3, -1
	v_cndmask_b32_e64 v5, 0, 1, s13
	s_delay_alu instid0(VALU_DEP_3)
	v_lshlrev_b32_e32 v6, 30, v4
	v_lshlrev_b32_e32 v7, 29, v4
	;; [unrolled: 1-line block ×4, first 2 shown]
	v_cmp_ne_u32_e32 vcc_lo, 0, v5
	v_not_b32_e32 v5, v6
	v_cmp_gt_i32_e64 s13, 0, v6
	v_not_b32_e32 v6, v7
	v_lshlrev_b32_e32 v24, 26, v4
	v_xor_b32_e32 v3, vcc_lo, v3
	v_ashrrev_i32_e32 v5, 31, v5
	v_cmp_gt_i32_e32 vcc_lo, 0, v7
	v_not_b32_e32 v7, v21
	v_ashrrev_i32_e32 v6, 31, v6
	v_and_b32_e32 v3, exec_lo, v3
	v_xor_b32_e32 v5, s13, v5
	v_cmp_gt_i32_e64 s13, 0, v21
	v_not_b32_e32 v21, v23
	v_ashrrev_i32_e32 v7, 31, v7
	v_xor_b32_e32 v6, vcc_lo, v6
	v_and_b32_e32 v3, v3, v5
	v_lshlrev_b32_e32 v25, 25, v4
	v_cmp_gt_i32_e32 vcc_lo, 0, v23
	v_not_b32_e32 v5, v24
	v_ashrrev_i32_e32 v21, 31, v21
	v_xor_b32_e32 v7, s13, v7
	v_and_b32_e32 v3, v3, v6
	v_lshlrev_b32_e32 v4, 24, v4
	v_cmp_gt_i32_e64 s13, 0, v24
	v_not_b32_e32 v6, v25
	v_ashrrev_i32_e32 v5, 31, v5
	v_xor_b32_e32 v21, vcc_lo, v21
	v_and_b32_e32 v3, v3, v7
	v_cmp_gt_i32_e32 vcc_lo, 0, v25
	v_not_b32_e32 v7, v4
	v_ashrrev_i32_e32 v6, 31, v6
	v_xor_b32_e32 v5, s13, v5
	v_and_b32_e32 v3, v3, v21
	v_cmp_gt_i32_e64 s13, 0, v4
	v_ashrrev_i32_e32 v4, 31, v7
	v_xor_b32_e32 v6, vcc_lo, v6
	ds_load_b32 v21, v19
	v_and_b32_e32 v3, v3, v5
	s_waitcnt lgkmcnt(0)
	v_xor_b32_e32 v0, s13, v4
	s_barrier
	buffer_gl0_inv
	v_and_b32_e32 v5, v3, v6
	v_dual_mov_b32 v3, s14 :: v_dual_mov_b32 v4, s15
	ds_store_2addr_b64 v13, v[1:2], v[3:4] offset0:4 offset1:5
	ds_store_2addr_b64 v12, v[1:2], v[3:4] offset0:2 offset1:3
	v_and_b32_e32 v0, v5, v0
	v_lshrrev_b32_e32 v5, 13, v20
	s_waitcnt lgkmcnt(0)
	s_barrier
	buffer_gl0_inv
	v_mbcnt_lo_u32_b32 v22, v0, 0
	v_and_b32_e32 v1, 0x7f8, v5
	v_cmp_ne_u32_e64 s13, 0, v0
	; wave barrier
	s_delay_alu instid0(VALU_DEP_3) | instskip(NEXT) | instid1(VALU_DEP_3)
	v_cmp_eq_u32_e32 vcc_lo, 0, v22
	v_add_lshl_u32 v23, v1, v18, 2
	s_delay_alu instid0(VALU_DEP_3) | instskip(NEXT) | instid1(SALU_CYCLE_1)
	s_and_b32 s14, s13, vcc_lo
	s_and_saveexec_b32 s13, s14
	s_cbranch_execz .LBB51_34
; %bb.33:
	v_bcnt_u32_b32 v0, v0, 0
	ds_store_b32 v23, v0 offset:32
.LBB51_34:
	s_or_b32 exec_lo, exec_lo, s13
	; wave barrier
	s_waitcnt lgkmcnt(0)
	s_barrier
	buffer_gl0_inv
	ds_load_2addr_b64 v[4:7], v13 offset0:4 offset1:5
	ds_load_2addr_b64 v[0:3], v12 offset0:2 offset1:3
	s_waitcnt lgkmcnt(1)
	v_add_nc_u32_e32 v24, v5, v4
	s_delay_alu instid0(VALU_DEP_1) | instskip(SKIP_1) | instid1(VALU_DEP_1)
	v_add3_u32 v24, v24, v6, v7
	s_waitcnt lgkmcnt(0)
	v_add3_u32 v24, v24, v0, v1
	s_delay_alu instid0(VALU_DEP_1) | instskip(NEXT) | instid1(VALU_DEP_1)
	v_add3_u32 v3, v24, v2, v3
	v_mov_b32_dpp v24, v3 row_shr:1 row_mask:0xf bank_mask:0xf
	s_delay_alu instid0(VALU_DEP_1) | instskip(NEXT) | instid1(VALU_DEP_1)
	v_cndmask_b32_e64 v24, v24, 0, s4
	v_add_nc_u32_e32 v3, v24, v3
	s_delay_alu instid0(VALU_DEP_1) | instskip(NEXT) | instid1(VALU_DEP_1)
	v_mov_b32_dpp v24, v3 row_shr:2 row_mask:0xf bank_mask:0xf
	v_cndmask_b32_e64 v24, 0, v24, s6
	s_delay_alu instid0(VALU_DEP_1) | instskip(NEXT) | instid1(VALU_DEP_1)
	v_add_nc_u32_e32 v3, v3, v24
	v_mov_b32_dpp v24, v3 row_shr:4 row_mask:0xf bank_mask:0xf
	s_delay_alu instid0(VALU_DEP_1) | instskip(NEXT) | instid1(VALU_DEP_1)
	v_cndmask_b32_e64 v24, 0, v24, s12
	v_add_nc_u32_e32 v3, v3, v24
	s_delay_alu instid0(VALU_DEP_1) | instskip(NEXT) | instid1(VALU_DEP_1)
	v_mov_b32_dpp v24, v3 row_shr:8 row_mask:0xf bank_mask:0xf
	v_cndmask_b32_e64 v24, 0, v24, s11
	s_delay_alu instid0(VALU_DEP_1) | instskip(SKIP_3) | instid1(VALU_DEP_1)
	v_add_nc_u32_e32 v3, v3, v24
	ds_swizzle_b32 v24, v3 offset:swizzle(BROADCAST,32,15)
	s_waitcnt lgkmcnt(0)
	v_cndmask_b32_e64 v24, v24, 0, s8
	v_add_nc_u32_e32 v3, v3, v24
	s_and_saveexec_b32 s13, s9
	s_cbranch_execz .LBB51_36
; %bb.35:
	ds_store_b32 v17, v3
.LBB51_36:
	s_or_b32 exec_lo, exec_lo, s13
	s_waitcnt lgkmcnt(0)
	s_barrier
	buffer_gl0_inv
	s_and_saveexec_b32 s13, s3
	s_cbranch_execz .LBB51_38
; %bb.37:
	ds_load_b32 v24, v14
	s_waitcnt lgkmcnt(0)
	v_mov_b32_dpp v25, v24 row_shr:1 row_mask:0xf bank_mask:0xf
	s_delay_alu instid0(VALU_DEP_1) | instskip(NEXT) | instid1(VALU_DEP_1)
	v_cndmask_b32_e64 v25, v25, 0, s10
	v_add_nc_u32_e32 v24, v25, v24
	s_delay_alu instid0(VALU_DEP_1) | instskip(NEXT) | instid1(VALU_DEP_1)
	v_mov_b32_dpp v25, v24 row_shr:2 row_mask:0xf bank_mask:0xf
	v_cndmask_b32_e64 v25, 0, v25, s7
	s_delay_alu instid0(VALU_DEP_1) | instskip(NEXT) | instid1(VALU_DEP_1)
	v_add_nc_u32_e32 v24, v24, v25
	v_mov_b32_dpp v25, v24 row_shr:4 row_mask:0xf bank_mask:0xf
	s_delay_alu instid0(VALU_DEP_1) | instskip(NEXT) | instid1(VALU_DEP_1)
	v_cndmask_b32_e64 v25, 0, v25, s5
	v_add_nc_u32_e32 v24, v24, v25
	ds_store_b32 v14, v24
.LBB51_38:
	s_or_b32 exec_lo, exec_lo, s13
	v_mov_b32_e32 v24, 0
	s_waitcnt lgkmcnt(0)
	s_barrier
	buffer_gl0_inv
	s_and_saveexec_b32 s13, s2
	s_cbranch_execz .LBB51_40
; %bb.39:
	ds_load_b32 v24, v16
.LBB51_40:
	s_or_b32 exec_lo, exec_lo, s13
	s_mov_b32 s14, 0
	s_delay_alu instid0(SALU_CYCLE_1)
	s_mov_b32 s15, s14
	s_waitcnt lgkmcnt(0)
	v_add_nc_u32_e32 v3, v24, v3
	s_mov_b32 s16, s14
	s_mov_b32 s17, s14
	ds_bpermute_b32 v3, v15, v3
	s_waitcnt lgkmcnt(0)
	v_cndmask_b32_e64 v3, v3, v24, s0
	s_delay_alu instid0(VALU_DEP_1) | instskip(NEXT) | instid1(VALU_DEP_1)
	v_cndmask_b32_e64 v3, v3, 0, s1
	v_add_nc_u32_e32 v4, v3, v4
	s_delay_alu instid0(VALU_DEP_1) | instskip(NEXT) | instid1(VALU_DEP_1)
	v_add_nc_u32_e32 v5, v4, v5
	v_add_nc_u32_e32 v6, v5, v6
	s_delay_alu instid0(VALU_DEP_1) | instskip(NEXT) | instid1(VALU_DEP_1)
	v_add_nc_u32_e32 v24, v6, v7
	;; [unrolled: 3-line block ×3, first 2 shown]
	v_add_nc_u32_e32 v1, v0, v2
	ds_store_2addr_b64 v13, v[3:4], v[5:6] offset0:4 offset1:5
	ds_store_2addr_b64 v12, v[24:25], v[0:1] offset0:2 offset1:3
	s_waitcnt lgkmcnt(0)
	s_barrier
	buffer_gl0_inv
	ds_load_b32 v0, v23 offset:32
	v_lshlrev_b32_e32 v1, 2, v22
	s_waitcnt lgkmcnt(0)
	s_barrier
	buffer_gl0_inv
	v_lshl_add_u32 v0, v0, 2, v1
	ds_store_b32 v0, v20
	s_waitcnt lgkmcnt(0)
	s_barrier
	buffer_gl0_inv
	ds_load_b32 v20, v19
	s_waitcnt lgkmcnt(0)
	s_barrier
	buffer_gl0_inv
	ds_store_b32 v0, v21
	s_waitcnt lgkmcnt(0)
	s_barrier
	buffer_gl0_inv
	ds_load_b32 v19, v19
	s_waitcnt lgkmcnt(0)
	s_barrier
	buffer_gl0_inv
	v_bfe_u32 v1, v20, 24, 1
	v_lshrrev_b32_e32 v5, 24, v20
	s_delay_alu instid0(VALU_DEP_2) | instskip(NEXT) | instid1(VALU_DEP_1)
	v_add_co_u32 v1, s13, v1, -1
	v_cndmask_b32_e64 v2, 0, 1, s13
	s_delay_alu instid0(VALU_DEP_3)
	v_lshlrev_b32_e32 v3, 30, v5
	v_lshlrev_b32_e32 v4, 29, v5
	;; [unrolled: 1-line block ×4, first 2 shown]
	v_cmp_ne_u32_e32 vcc_lo, 0, v2
	v_not_b32_e32 v2, v3
	v_cmp_gt_i32_e64 s13, 0, v3
	v_not_b32_e32 v3, v4
	v_lshlrev_b32_e32 v22, 26, v5
	v_xor_b32_e32 v1, vcc_lo, v1
	v_ashrrev_i32_e32 v2, 31, v2
	v_cmp_gt_i32_e32 vcc_lo, 0, v4
	v_not_b32_e32 v4, v6
	v_ashrrev_i32_e32 v3, 31, v3
	v_and_b32_e32 v1, exec_lo, v1
	v_xor_b32_e32 v2, s13, v2
	v_cmp_gt_i32_e64 s13, 0, v6
	v_not_b32_e32 v6, v7
	v_ashrrev_i32_e32 v4, 31, v4
	v_xor_b32_e32 v3, vcc_lo, v3
	v_and_b32_e32 v1, v1, v2
	v_lshlrev_b32_e32 v23, 25, v5
	v_cmp_gt_i32_e32 vcc_lo, 0, v7
	v_not_b32_e32 v2, v22
	v_ashrrev_i32_e32 v6, 31, v6
	v_xor_b32_e32 v4, s13, v4
	v_and_b32_e32 v1, v1, v3
	v_cmp_gt_i32_e64 s13, 0, v22
	v_not_b32_e32 v3, v23
	v_ashrrev_i32_e32 v2, 31, v2
	v_xor_b32_e32 v6, vcc_lo, v6
	v_and_b32_e32 v1, v1, v4
	v_not_b32_e32 v4, v20
	v_cmp_gt_i32_e32 vcc_lo, 0, v23
	v_ashrrev_i32_e32 v3, 31, v3
	v_xor_b32_e32 v2, s13, v2
	v_and_b32_e32 v1, v1, v6
	v_cmp_gt_i32_e64 s13, 0, v20
	v_ashrrev_i32_e32 v4, 31, v4
	v_xor_b32_e32 v3, vcc_lo, v3
	s_delay_alu instid0(VALU_DEP_4) | instskip(NEXT) | instid1(VALU_DEP_3)
	v_and_b32_e32 v1, v1, v2
	v_xor_b32_e32 v0, s13, v4
	s_delay_alu instid0(VALU_DEP_2) | instskip(SKIP_1) | instid1(VALU_DEP_2)
	v_and_b32_e32 v3, v1, v3
	v_dual_mov_b32 v1, s14 :: v_dual_mov_b32 v2, s15
	v_dual_mov_b32 v3, s16 :: v_dual_and_b32 v0, v3, v0
	v_mov_b32_e32 v4, s17
	ds_store_2addr_b64 v13, v[1:2], v[3:4] offset0:4 offset1:5
	ds_store_2addr_b64 v12, v[1:2], v[3:4] offset0:2 offset1:3
	v_mbcnt_lo_u32_b32 v21, v0, 0
	v_lshlrev_b32_e32 v1, 3, v5
	v_cmp_ne_u32_e64 s13, 0, v0
	s_waitcnt lgkmcnt(0)
	s_barrier
	v_cmp_eq_u32_e32 vcc_lo, 0, v21
	v_add_lshl_u32 v18, v1, v18, 2
	buffer_gl0_inv
	; wave barrier
	s_and_b32 s14, s13, vcc_lo
	s_delay_alu instid0(SALU_CYCLE_1)
	s_and_saveexec_b32 s13, s14
	s_cbranch_execz .LBB51_42
; %bb.41:
	v_bcnt_u32_b32 v0, v0, 0
	ds_store_b32 v18, v0 offset:32
.LBB51_42:
	s_or_b32 exec_lo, exec_lo, s13
	; wave barrier
	s_waitcnt lgkmcnt(0)
	s_barrier
	buffer_gl0_inv
	ds_load_2addr_b64 v[4:7], v13 offset0:4 offset1:5
	ds_load_2addr_b64 v[0:3], v12 offset0:2 offset1:3
	s_waitcnt lgkmcnt(1)
	v_add_nc_u32_e32 v22, v5, v4
	s_delay_alu instid0(VALU_DEP_1) | instskip(SKIP_1) | instid1(VALU_DEP_1)
	v_add3_u32 v22, v22, v6, v7
	s_waitcnt lgkmcnt(0)
	v_add3_u32 v22, v22, v0, v1
	s_delay_alu instid0(VALU_DEP_1) | instskip(NEXT) | instid1(VALU_DEP_1)
	v_add3_u32 v3, v22, v2, v3
	v_mov_b32_dpp v22, v3 row_shr:1 row_mask:0xf bank_mask:0xf
	s_delay_alu instid0(VALU_DEP_1) | instskip(NEXT) | instid1(VALU_DEP_1)
	v_cndmask_b32_e64 v22, v22, 0, s4
	v_add_nc_u32_e32 v3, v22, v3
	s_delay_alu instid0(VALU_DEP_1) | instskip(NEXT) | instid1(VALU_DEP_1)
	v_mov_b32_dpp v22, v3 row_shr:2 row_mask:0xf bank_mask:0xf
	v_cndmask_b32_e64 v22, 0, v22, s6
	s_delay_alu instid0(VALU_DEP_1) | instskip(NEXT) | instid1(VALU_DEP_1)
	v_add_nc_u32_e32 v3, v3, v22
	v_mov_b32_dpp v22, v3 row_shr:4 row_mask:0xf bank_mask:0xf
	s_delay_alu instid0(VALU_DEP_1) | instskip(NEXT) | instid1(VALU_DEP_1)
	v_cndmask_b32_e64 v22, 0, v22, s12
	v_add_nc_u32_e32 v3, v3, v22
	s_delay_alu instid0(VALU_DEP_1) | instskip(NEXT) | instid1(VALU_DEP_1)
	v_mov_b32_dpp v22, v3 row_shr:8 row_mask:0xf bank_mask:0xf
	v_cndmask_b32_e64 v22, 0, v22, s11
	s_delay_alu instid0(VALU_DEP_1) | instskip(SKIP_3) | instid1(VALU_DEP_1)
	v_add_nc_u32_e32 v3, v3, v22
	ds_swizzle_b32 v22, v3 offset:swizzle(BROADCAST,32,15)
	s_waitcnt lgkmcnt(0)
	v_cndmask_b32_e64 v22, v22, 0, s8
	v_add_nc_u32_e32 v3, v3, v22
	s_and_saveexec_b32 s4, s9
	s_cbranch_execz .LBB51_44
; %bb.43:
	ds_store_b32 v17, v3
.LBB51_44:
	s_or_b32 exec_lo, exec_lo, s4
	s_waitcnt lgkmcnt(0)
	s_barrier
	buffer_gl0_inv
	s_and_saveexec_b32 s4, s3
	s_cbranch_execz .LBB51_46
; %bb.45:
	ds_load_b32 v17, v14
	s_waitcnt lgkmcnt(0)
	v_mov_b32_dpp v22, v17 row_shr:1 row_mask:0xf bank_mask:0xf
	s_delay_alu instid0(VALU_DEP_1) | instskip(NEXT) | instid1(VALU_DEP_1)
	v_cndmask_b32_e64 v22, v22, 0, s10
	v_add_nc_u32_e32 v17, v22, v17
	s_delay_alu instid0(VALU_DEP_1) | instskip(NEXT) | instid1(VALU_DEP_1)
	v_mov_b32_dpp v22, v17 row_shr:2 row_mask:0xf bank_mask:0xf
	v_cndmask_b32_e64 v22, 0, v22, s7
	s_delay_alu instid0(VALU_DEP_1) | instskip(NEXT) | instid1(VALU_DEP_1)
	v_add_nc_u32_e32 v17, v17, v22
	v_mov_b32_dpp v22, v17 row_shr:4 row_mask:0xf bank_mask:0xf
	s_delay_alu instid0(VALU_DEP_1) | instskip(NEXT) | instid1(VALU_DEP_1)
	v_cndmask_b32_e64 v22, 0, v22, s5
	v_add_nc_u32_e32 v17, v17, v22
	ds_store_b32 v14, v17
.LBB51_46:
	s_or_b32 exec_lo, exec_lo, s4
	v_mov_b32_e32 v17, 0
	s_waitcnt lgkmcnt(0)
	s_barrier
	buffer_gl0_inv
	s_and_saveexec_b32 s3, s2
	s_cbranch_execz .LBB51_48
; %bb.47:
	ds_load_b32 v17, v16
.LBB51_48:
	s_or_b32 exec_lo, exec_lo, s3
	s_waitcnt lgkmcnt(0)
	v_add_nc_u32_e32 v3, v17, v3
	ds_bpermute_b32 v3, v15, v3
	s_waitcnt lgkmcnt(0)
	v_cndmask_b32_e64 v3, v3, v17, s0
	s_delay_alu instid0(VALU_DEP_1) | instskip(NEXT) | instid1(VALU_DEP_1)
	v_cndmask_b32_e64 v3, v3, 0, s1
	v_add_nc_u32_e32 v4, v3, v4
	s_delay_alu instid0(VALU_DEP_1) | instskip(NEXT) | instid1(VALU_DEP_1)
	v_add_nc_u32_e32 v5, v4, v5
	v_add_nc_u32_e32 v6, v5, v6
	s_delay_alu instid0(VALU_DEP_1) | instskip(NEXT) | instid1(VALU_DEP_1)
	v_add_nc_u32_e32 v15, v6, v7
	;; [unrolled: 3-line block ×3, first 2 shown]
	v_add_nc_u32_e32 v1, v0, v2
	ds_store_2addr_b64 v13, v[3:4], v[5:6] offset0:4 offset1:5
	ds_store_2addr_b64 v12, v[15:16], v[0:1] offset0:2 offset1:3
	s_waitcnt lgkmcnt(0)
	s_barrier
	buffer_gl0_inv
	ds_load_b32 v0, v18 offset:32
	v_lshlrev_b32_e32 v1, 2, v21
	s_waitcnt lgkmcnt(0)
	s_barrier
	buffer_gl0_inv
	v_lshl_add_u32 v1, v0, 2, v1
	ds_store_b32 v1, v20
	s_waitcnt lgkmcnt(0)
	s_barrier
	buffer_gl0_inv
	ds_load_b32 v0, v14
	s_waitcnt lgkmcnt(0)
	s_barrier
	buffer_gl0_inv
	ds_store_b32 v1, v19
	s_waitcnt lgkmcnt(0)
	s_barrier
.LBB51_49:
	s_waitcnt vmcnt(0)
	buffer_gl0_inv
	ds_load_b32 v1, v14
	global_store_b32 v[8:9], v0, off
	s_waitcnt lgkmcnt(0)
	global_store_b32 v[10:11], v1, off
	s_nop 0
	s_sendmsg sendmsg(MSG_DEALLOC_VGPRS)
	s_endpgm
	.section	.rodata,"a",@progbits
	.p2align	6, 0x0
	.amdhsa_kernel _Z21sort_key_value_kernelILj256ELj1ELb0ELb0EjiEvPT3_PT4_jj
		.amdhsa_group_segment_fixed_size 8224
		.amdhsa_private_segment_fixed_size 0
		.amdhsa_kernarg_size 280
		.amdhsa_user_sgpr_count 15
		.amdhsa_user_sgpr_dispatch_ptr 0
		.amdhsa_user_sgpr_queue_ptr 0
		.amdhsa_user_sgpr_kernarg_segment_ptr 1
		.amdhsa_user_sgpr_dispatch_id 0
		.amdhsa_user_sgpr_private_segment_size 0
		.amdhsa_wavefront_size32 1
		.amdhsa_uses_dynamic_stack 0
		.amdhsa_enable_private_segment 0
		.amdhsa_system_sgpr_workgroup_id_x 1
		.amdhsa_system_sgpr_workgroup_id_y 0
		.amdhsa_system_sgpr_workgroup_id_z 0
		.amdhsa_system_sgpr_workgroup_info 0
		.amdhsa_system_vgpr_workitem_id 2
		.amdhsa_next_free_vgpr 29
		.amdhsa_next_free_sgpr 24
		.amdhsa_reserve_vcc 1
		.amdhsa_float_round_mode_32 0
		.amdhsa_float_round_mode_16_64 0
		.amdhsa_float_denorm_mode_32 3
		.amdhsa_float_denorm_mode_16_64 3
		.amdhsa_dx10_clamp 1
		.amdhsa_ieee_mode 1
		.amdhsa_fp16_overflow 0
		.amdhsa_workgroup_processor_mode 1
		.amdhsa_memory_ordered 1
		.amdhsa_forward_progress 0
		.amdhsa_shared_vgpr_count 0
		.amdhsa_exception_fp_ieee_invalid_op 0
		.amdhsa_exception_fp_denorm_src 0
		.amdhsa_exception_fp_ieee_div_zero 0
		.amdhsa_exception_fp_ieee_overflow 0
		.amdhsa_exception_fp_ieee_underflow 0
		.amdhsa_exception_fp_ieee_inexact 0
		.amdhsa_exception_int_div_zero 0
	.end_amdhsa_kernel
	.section	.text._Z21sort_key_value_kernelILj256ELj1ELb0ELb0EjiEvPT3_PT4_jj,"axG",@progbits,_Z21sort_key_value_kernelILj256ELj1ELb0ELb0EjiEvPT3_PT4_jj,comdat
.Lfunc_end51:
	.size	_Z21sort_key_value_kernelILj256ELj1ELb0ELb0EjiEvPT3_PT4_jj, .Lfunc_end51-_Z21sort_key_value_kernelILj256ELj1ELb0ELb0EjiEvPT3_PT4_jj
                                        ; -- End function
	.section	.AMDGPU.csdata,"",@progbits
; Kernel info:
; codeLenInByte = 5636
; NumSgprs: 26
; NumVgprs: 29
; ScratchSize: 0
; MemoryBound: 0
; FloatMode: 240
; IeeeMode: 1
; LDSByteSize: 8224 bytes/workgroup (compile time only)
; SGPRBlocks: 3
; VGPRBlocks: 3
; NumSGPRsForWavesPerEU: 26
; NumVGPRsForWavesPerEU: 29
; Occupancy: 16
; WaveLimiterHint : 0
; COMPUTE_PGM_RSRC2:SCRATCH_EN: 0
; COMPUTE_PGM_RSRC2:USER_SGPR: 15
; COMPUTE_PGM_RSRC2:TRAP_HANDLER: 0
; COMPUTE_PGM_RSRC2:TGID_X_EN: 1
; COMPUTE_PGM_RSRC2:TGID_Y_EN: 0
; COMPUTE_PGM_RSRC2:TGID_Z_EN: 0
; COMPUTE_PGM_RSRC2:TIDIG_COMP_CNT: 2
	.section	.text._Z21sort_key_value_kernelILj128ELj1ELb0ELb0EiiEvPT3_PT4_jj,"axG",@progbits,_Z21sort_key_value_kernelILj128ELj1ELb0ELb0EiiEvPT3_PT4_jj,comdat
	.protected	_Z21sort_key_value_kernelILj128ELj1ELb0ELb0EiiEvPT3_PT4_jj ; -- Begin function _Z21sort_key_value_kernelILj128ELj1ELb0ELb0EiiEvPT3_PT4_jj
	.globl	_Z21sort_key_value_kernelILj128ELj1ELb0ELb0EiiEvPT3_PT4_jj
	.p2align	8
	.type	_Z21sort_key_value_kernelILj128ELj1ELb0ELb0EiiEvPT3_PT4_jj,@function
_Z21sort_key_value_kernelILj128ELj1ELb0ELb0EiiEvPT3_PT4_jj: ; @_Z21sort_key_value_kernelILj128ELj1ELb0ELb0EiiEvPT3_PT4_jj
; %bb.0:
	s_clause 0x1
	s_load_b128 s[4:7], s[0:1], 0x0
	s_load_b64 s[18:19], s[0:1], 0x10
	v_mbcnt_lo_u32_b32 v4, -1, 0
	v_and_b32_e32 v1, 0x3ff, v0
	s_mov_b32 s13, 0
	s_lshl_b32 s12, s15, 7
	s_load_b32 s11, s[0:1], 0x24
	v_add_nc_u32_e32 v6, -1, v4
	s_lshl_b64 s[2:3], s[12:13], 2
	v_bfe_u32 v2, v0, 10, 10
	v_bfe_u32 v0, v0, 20, 10
	v_and_b32_e32 v3, 15, v4
	v_cmp_gt_i32_e32 vcc_lo, 0, v6
	v_lshlrev_b32_e32 v23, 2, v1
	v_and_b32_e32 v5, 16, v4
	v_and_b32_e32 v7, 3, v4
	v_cmp_eq_u32_e64 s10, 0, v3
	v_cndmask_b32_e32 v6, v6, v4, vcc_lo
	v_cmp_lt_u32_e64 s9, 1, v3
	v_cmp_lt_u32_e64 s8, 3, v3
	s_waitcnt lgkmcnt(0)
	s_add_u32 s14, s4, s2
	s_addc_u32 s15, s5, s3
	s_add_u32 s16, s6, s2
	global_load_b32 v22, v23, s[14:15]
	s_addc_u32 s17, s7, s3
	s_cmp_eq_u32 s18, 0
	global_load_b32 v20, v23, s[16:17]
	s_cselect_b32 s12, -1, 0
	s_cmp_eq_u32 s19, 32
	v_cmp_lt_u32_e64 s7, 7, v3
	s_cselect_b32 s20, -1, 0
	s_lshr_b32 s21, s11, 16
	v_lshrrev_b32_e32 v3, 3, v1
	v_mad_u32_u24 v0, v0, s21, v2
	v_cmp_eq_u32_e64 s6, 0, v5
	v_and_b32_e32 v5, 0x60, v1
	s_and_b32 s11, s11, 0xffff
	v_and_b32_e32 v17, 12, v3
	v_mad_u64_u32 v[2:3], null, v0, s11, v[1:2]
	v_lshlrev_b32_e32 v13, 5, v1
	v_mul_i32_i24_e32 v8, 0xffffffe4, v1
	v_cmp_eq_u32_e64 s4, 0, v7
	v_cmp_lt_u32_e64 s5, 1, v7
	v_or_b32_e32 v7, 31, v5
	v_or_b32_e32 v0, v4, v5
	v_cmp_eq_u32_e64 s0, 0, v4
	v_cmp_gt_u32_e64 s3, 4, v1
	v_cmp_lt_u32_e64 s2, 31, v1
	v_cmp_eq_u32_e64 s1, 0, v1
	v_or_b32_e32 v14, 16, v13
	v_lshlrev_b32_e32 v15, 2, v6
	v_cmp_eq_u32_e64 s11, v7, v1
	v_add_nc_u32_e32 v16, -4, v17
	v_lshlrev_b32_e32 v19, 2, v0
	v_lshrrev_b32_e32 v18, 5, v2
	v_add_nc_u32_e32 v12, v13, v8
	s_and_b32 s12, s12, s20
	s_delay_alu instid0(SALU_CYCLE_1)
	s_and_b32 vcc_lo, exec_lo, s12
	s_mov_b32 s12, -1
	s_waitcnt vmcnt(1)
	v_xor_b32_e32 v21, 0x80000000, v22
	s_cbranch_vccnz .LBB52_14
; %bb.1:
	s_mov_b32 s12, s13
	s_mov_b32 s20, s13
	;; [unrolled: 1-line block ×3, first 2 shown]
	v_dual_mov_b32 v8, s12 :: v_dual_mov_b32 v9, s13
	v_dual_mov_b32 v10, s20 :: v_dual_mov_b32 v11, s21
	s_waitcnt vmcnt(0)
	v_mov_b32_e32 v0, v20
	v_mov_b32_e32 v2, v21
	s_sub_i32 s13, s19, s18
	s_branch .LBB52_3
.LBB52_2:                               ;   in Loop: Header=BB52_3 Depth=1
	s_barrier
	buffer_gl0_inv
	ds_store_b32 v1, v24
	s_waitcnt lgkmcnt(0)
	s_barrier
	buffer_gl0_inv
	ds_load_b32 v2, v19
	s_waitcnt lgkmcnt(0)
	s_barrier
	buffer_gl0_inv
	ds_store_b32 v1, v25
	s_waitcnt lgkmcnt(0)
	s_barrier
	buffer_gl0_inv
	ds_load_b32 v0, v19
	s_add_i32 s13, s13, -8
	s_waitcnt lgkmcnt(0)
	s_barrier
	buffer_gl0_inv
	s_cbranch_execz .LBB52_13
.LBB52_3:                               ; =>This Inner Loop Header: Depth=1
	s_delay_alu instid0(VALU_DEP_1)
	v_mov_b32_e32 v24, v2
	s_min_u32 s12, s13, 8
	ds_store_2addr_b64 v13, v[8:9], v[10:11] offset0:2 offset1:3
	ds_store_2addr_b64 v14, v[8:9], v[10:11] offset0:2 offset1:3
	s_waitcnt lgkmcnt(0)
	s_barrier
	v_lshrrev_b32_e32 v1, s18, v24
	buffer_gl0_inv
	; wave barrier
	v_bfe_u32 v2, v1, 0, s12
	s_delay_alu instid0(VALU_DEP_1)
	v_and_b32_e32 v1, 1, v2
	v_lshlrev_b32_e32 v3, 30, v2
	v_lshlrev_b32_e32 v4, 29, v2
	;; [unrolled: 1-line block ×4, first 2 shown]
	v_add_co_u32 v1, s12, v1, -1
	s_delay_alu instid0(VALU_DEP_1)
	v_cndmask_b32_e64 v6, 0, 1, s12
	v_not_b32_e32 v27, v3
	v_cmp_gt_i32_e64 s12, 0, v3
	v_not_b32_e32 v3, v4
	v_lshlrev_b32_e32 v25, 26, v2
	v_cmp_ne_u32_e32 vcc_lo, 0, v6
	v_ashrrev_i32_e32 v27, 31, v27
	v_lshlrev_b32_e32 v26, 25, v2
	v_ashrrev_i32_e32 v3, 31, v3
	v_lshlrev_b32_e32 v6, 24, v2
	v_xor_b32_e32 v1, vcc_lo, v1
	v_cmp_gt_i32_e32 vcc_lo, 0, v4
	v_not_b32_e32 v4, v5
	v_xor_b32_e32 v27, s12, v27
	v_cmp_gt_i32_e64 s12, 0, v5
	v_and_b32_e32 v1, exec_lo, v1
	v_not_b32_e32 v5, v7
	v_ashrrev_i32_e32 v4, 31, v4
	v_xor_b32_e32 v3, vcc_lo, v3
	v_cmp_gt_i32_e32 vcc_lo, 0, v7
	v_and_b32_e32 v1, v1, v27
	v_not_b32_e32 v7, v25
	v_ashrrev_i32_e32 v5, 31, v5
	v_xor_b32_e32 v4, s12, v4
	v_cmp_gt_i32_e64 s12, 0, v25
	v_mov_b32_e32 v25, v0
	v_and_b32_e32 v1, v1, v3
	v_not_b32_e32 v3, v26
	v_ashrrev_i32_e32 v7, 31, v7
	v_xor_b32_e32 v5, vcc_lo, v5
	v_cmp_gt_i32_e32 vcc_lo, 0, v26
	v_and_b32_e32 v1, v1, v4
	v_not_b32_e32 v4, v6
	v_ashrrev_i32_e32 v3, 31, v3
	v_xor_b32_e32 v7, s12, v7
	v_cmp_gt_i32_e64 s12, 0, v6
	v_and_b32_e32 v1, v1, v5
	v_ashrrev_i32_e32 v4, 31, v4
	v_xor_b32_e32 v3, vcc_lo, v3
	v_lshl_add_u32 v0, v2, 2, v18
	s_delay_alu instid0(VALU_DEP_4) | instskip(NEXT) | instid1(VALU_DEP_4)
	v_and_b32_e32 v1, v1, v7
	v_xor_b32_e32 v4, s12, v4
	s_delay_alu instid0(VALU_DEP_3) | instskip(NEXT) | instid1(VALU_DEP_3)
	v_lshl_add_u32 v27, v0, 2, 16
	v_and_b32_e32 v1, v1, v3
	s_delay_alu instid0(VALU_DEP_1) | instskip(NEXT) | instid1(VALU_DEP_1)
	v_and_b32_e32 v1, v1, v4
	v_mbcnt_lo_u32_b32 v26, v1, 0
	v_cmp_ne_u32_e64 s12, 0, v1
	s_delay_alu instid0(VALU_DEP_2) | instskip(NEXT) | instid1(VALU_DEP_2)
	v_cmp_eq_u32_e32 vcc_lo, 0, v26
	s_and_b32 s20, s12, vcc_lo
	s_delay_alu instid0(SALU_CYCLE_1)
	s_and_saveexec_b32 s12, s20
	s_cbranch_execz .LBB52_5
; %bb.4:                                ;   in Loop: Header=BB52_3 Depth=1
	v_bcnt_u32_b32 v0, v1, 0
	ds_store_b32 v27, v0
.LBB52_5:                               ;   in Loop: Header=BB52_3 Depth=1
	s_or_b32 exec_lo, exec_lo, s12
	; wave barrier
	s_waitcnt lgkmcnt(0)
	s_barrier
	buffer_gl0_inv
	ds_load_2addr_b64 v[4:7], v13 offset0:2 offset1:3
	ds_load_2addr_b64 v[0:3], v14 offset0:2 offset1:3
	s_waitcnt lgkmcnt(1)
	v_add_nc_u32_e32 v28, v5, v4
	s_delay_alu instid0(VALU_DEP_1) | instskip(SKIP_1) | instid1(VALU_DEP_1)
	v_add3_u32 v28, v28, v6, v7
	s_waitcnt lgkmcnt(0)
	v_add3_u32 v28, v28, v0, v1
	s_delay_alu instid0(VALU_DEP_1) | instskip(NEXT) | instid1(VALU_DEP_1)
	v_add3_u32 v3, v28, v2, v3
	v_mov_b32_dpp v28, v3 row_shr:1 row_mask:0xf bank_mask:0xf
	s_delay_alu instid0(VALU_DEP_1) | instskip(NEXT) | instid1(VALU_DEP_1)
	v_cndmask_b32_e64 v28, v28, 0, s10
	v_add_nc_u32_e32 v3, v28, v3
	s_delay_alu instid0(VALU_DEP_1) | instskip(NEXT) | instid1(VALU_DEP_1)
	v_mov_b32_dpp v28, v3 row_shr:2 row_mask:0xf bank_mask:0xf
	v_cndmask_b32_e64 v28, 0, v28, s9
	s_delay_alu instid0(VALU_DEP_1) | instskip(NEXT) | instid1(VALU_DEP_1)
	v_add_nc_u32_e32 v3, v3, v28
	v_mov_b32_dpp v28, v3 row_shr:4 row_mask:0xf bank_mask:0xf
	s_delay_alu instid0(VALU_DEP_1) | instskip(NEXT) | instid1(VALU_DEP_1)
	v_cndmask_b32_e64 v28, 0, v28, s8
	v_add_nc_u32_e32 v3, v3, v28
	s_delay_alu instid0(VALU_DEP_1) | instskip(NEXT) | instid1(VALU_DEP_1)
	v_mov_b32_dpp v28, v3 row_shr:8 row_mask:0xf bank_mask:0xf
	v_cndmask_b32_e64 v28, 0, v28, s7
	s_delay_alu instid0(VALU_DEP_1) | instskip(SKIP_3) | instid1(VALU_DEP_1)
	v_add_nc_u32_e32 v3, v3, v28
	ds_swizzle_b32 v28, v3 offset:swizzle(BROADCAST,32,15)
	s_waitcnt lgkmcnt(0)
	v_cndmask_b32_e64 v28, v28, 0, s6
	v_add_nc_u32_e32 v3, v3, v28
	s_and_saveexec_b32 s12, s11
	s_cbranch_execz .LBB52_7
; %bb.6:                                ;   in Loop: Header=BB52_3 Depth=1
	ds_store_b32 v17, v3
.LBB52_7:                               ;   in Loop: Header=BB52_3 Depth=1
	s_or_b32 exec_lo, exec_lo, s12
	s_waitcnt lgkmcnt(0)
	s_barrier
	buffer_gl0_inv
	s_and_saveexec_b32 s12, s3
	s_cbranch_execz .LBB52_9
; %bb.8:                                ;   in Loop: Header=BB52_3 Depth=1
	ds_load_b32 v28, v12
	s_waitcnt lgkmcnt(0)
	v_mov_b32_dpp v29, v28 row_shr:1 row_mask:0xf bank_mask:0xf
	s_delay_alu instid0(VALU_DEP_1) | instskip(NEXT) | instid1(VALU_DEP_1)
	v_cndmask_b32_e64 v29, v29, 0, s4
	v_add_nc_u32_e32 v28, v29, v28
	s_delay_alu instid0(VALU_DEP_1) | instskip(NEXT) | instid1(VALU_DEP_1)
	v_mov_b32_dpp v29, v28 row_shr:2 row_mask:0xf bank_mask:0xf
	v_cndmask_b32_e64 v29, 0, v29, s5
	s_delay_alu instid0(VALU_DEP_1)
	v_add_nc_u32_e32 v28, v28, v29
	ds_store_b32 v12, v28
.LBB52_9:                               ;   in Loop: Header=BB52_3 Depth=1
	s_or_b32 exec_lo, exec_lo, s12
	v_mov_b32_e32 v28, 0
	s_waitcnt lgkmcnt(0)
	s_barrier
	buffer_gl0_inv
	s_and_saveexec_b32 s12, s2
	s_cbranch_execz .LBB52_11
; %bb.10:                               ;   in Loop: Header=BB52_3 Depth=1
	ds_load_b32 v28, v16
.LBB52_11:                              ;   in Loop: Header=BB52_3 Depth=1
	s_or_b32 exec_lo, exec_lo, s12
	s_waitcnt lgkmcnt(0)
	v_add_nc_u32_e32 v3, v28, v3
	s_add_i32 s18, s18, 8
	s_delay_alu instid0(SALU_CYCLE_1) | instskip(SKIP_3) | instid1(VALU_DEP_1)
	s_cmp_ge_u32 s18, s19
	ds_bpermute_b32 v3, v15, v3
	s_waitcnt lgkmcnt(0)
	v_cndmask_b32_e64 v3, v3, v28, s0
	v_cndmask_b32_e64 v3, v3, 0, s1
	s_delay_alu instid0(VALU_DEP_1) | instskip(NEXT) | instid1(VALU_DEP_1)
	v_add_nc_u32_e32 v4, v3, v4
	v_add_nc_u32_e32 v5, v4, v5
	s_delay_alu instid0(VALU_DEP_1) | instskip(NEXT) | instid1(VALU_DEP_1)
	v_add_nc_u32_e32 v6, v5, v6
	v_add_nc_u32_e32 v28, v6, v7
	;; [unrolled: 3-line block ×3, first 2 shown]
	s_delay_alu instid0(VALU_DEP_1)
	v_add_nc_u32_e32 v1, v0, v2
	ds_store_2addr_b64 v13, v[3:4], v[5:6] offset0:2 offset1:3
	ds_store_2addr_b64 v14, v[28:29], v[0:1] offset0:2 offset1:3
	s_waitcnt lgkmcnt(0)
	s_barrier
	buffer_gl0_inv
	ds_load_b32 v0, v27
	v_lshlrev_b32_e32 v1, 2, v26
	s_waitcnt lgkmcnt(0)
	s_delay_alu instid0(VALU_DEP_1)
	v_lshl_add_u32 v1, v0, 2, v1
	s_cbranch_scc0 .LBB52_2
; %bb.12:
                                        ; implicit-def: $vgpr2
                                        ; implicit-def: $vgpr0
                                        ; implicit-def: $sgpr13
.LBB52_13:
	s_barrier
	buffer_gl0_inv
	ds_store_b32 v1, v24
	s_waitcnt lgkmcnt(0)
	s_barrier
	buffer_gl0_inv
	ds_load_b32 v0, v12
	s_mov_b32 s12, 0
	s_waitcnt lgkmcnt(0)
	s_barrier
	buffer_gl0_inv
	ds_store_b32 v1, v25
	s_waitcnt lgkmcnt(0)
	s_barrier
	s_branch .LBB52_15
.LBB52_14:
                                        ; implicit-def: $vgpr0
.LBB52_15:
	v_add_co_u32 v8, s13, s14, v23
	s_delay_alu instid0(VALU_DEP_1) | instskip(SKIP_1) | instid1(VALU_DEP_1)
	v_add_co_ci_u32_e64 v9, null, s15, 0, s13
	v_add_co_u32 v10, s13, s16, v23
	v_add_co_ci_u32_e64 v11, null, s17, 0, s13
	s_and_b32 vcc_lo, exec_lo, s12
	s_cbranch_vccz .LBB52_49
; %bb.16:
	s_mov_b32 s14, 0
	v_lshlrev_b32_e32 v2, 29, v22
	s_mov_b32 s15, s14
	v_and_b32_e32 v0, 1, v22
	v_lshlrev_b32_e32 v1, 30, v22
	v_lshlrev_b32_e32 v4, 28, v22
	;; [unrolled: 1-line block ×4, first 2 shown]
	v_add_co_u32 v0, s12, v0, -1
	s_delay_alu instid0(VALU_DEP_1)
	v_cndmask_b32_e64 v3, 0, 1, s12
	v_not_b32_e32 v7, v1
	v_cmp_gt_i32_e64 s12, 0, v1
	v_not_b32_e32 v1, v2
	v_cmp_gt_i32_e64 s13, 0, v5
	v_cmp_ne_u32_e32 vcc_lo, 0, v3
	v_ashrrev_i32_e32 v7, 31, v7
	v_lshlrev_b32_e32 v3, 25, v22
	v_ashrrev_i32_e32 v1, 31, v1
	v_xor_b32_e32 v0, vcc_lo, v0
	v_cmp_gt_i32_e32 vcc_lo, 0, v2
	v_not_b32_e32 v2, v4
	v_xor_b32_e32 v7, s12, v7
	v_cmp_gt_i32_e64 s12, 0, v4
	v_and_b32_e32 v0, exec_lo, v0
	v_xor_b32_e32 v1, vcc_lo, v1
	v_ashrrev_i32_e32 v2, 31, v2
	v_not_b32_e32 v4, v5
	v_not_b32_e32 v5, v6
	v_and_b32_e32 v0, v0, v7
	v_cmp_gt_i32_e32 vcc_lo, 0, v6
	v_xor_b32_e32 v2, s12, v2
	v_not_b32_e32 v6, v3
	s_delay_alu instid0(VALU_DEP_4) | instskip(SKIP_3) | instid1(VALU_DEP_4)
	v_and_b32_e32 v0, v0, v1
	v_ashrrev_i32_e32 v1, 31, v4
	v_ashrrev_i32_e32 v4, 31, v5
	v_lshlrev_b32_e32 v5, 24, v22
	v_and_b32_e32 v0, v0, v2
	s_delay_alu instid0(VALU_DEP_4) | instskip(NEXT) | instid1(VALU_DEP_4)
	v_xor_b32_e32 v1, s13, v1
	v_xor_b32_e32 v2, vcc_lo, v4
	v_cmp_gt_i32_e32 vcc_lo, 0, v3
	v_not_b32_e32 v3, v5
	v_ashrrev_i32_e32 v4, 31, v6
	v_and_b32_e32 v0, v0, v1
	v_cmp_gt_i32_e64 s12, 0, v5
	v_and_b32_e32 v5, 0xff, v22
	v_ashrrev_i32_e32 v1, 31, v3
	v_xor_b32_e32 v3, vcc_lo, v4
	v_and_b32_e32 v0, v0, v2
	s_mov_b32 s13, s14
	v_lshlrev_b32_e32 v5, 2, v5
	v_xor_b32_e32 v1, s12, v1
	s_mov_b32 s12, s14
	s_delay_alu instid0(SALU_CYCLE_1) | instskip(SKIP_2) | instid1(VALU_DEP_3)
	v_dual_mov_b32 v3, s12 :: v_dual_and_b32 v0, v0, v3
	v_mov_b32_e32 v4, s13
	v_add_lshl_u32 v23, v5, v18, 2
	v_dual_mov_b32 v1, s14 :: v_dual_and_b32 v0, v0, v1
	v_mov_b32_e32 v2, s15
	ds_store_2addr_b64 v13, v[1:2], v[3:4] offset0:2 offset1:3
	ds_store_2addr_b64 v14, v[1:2], v[3:4] offset0:2 offset1:3
	v_mbcnt_lo_u32_b32 v22, v0, 0
	v_cmp_ne_u32_e64 s12, 0, v0
	s_waitcnt vmcnt(0) lgkmcnt(0)
	s_barrier
	buffer_gl0_inv
	v_cmp_eq_u32_e32 vcc_lo, 0, v22
	; wave barrier
	s_and_b32 s13, s12, vcc_lo
	s_delay_alu instid0(SALU_CYCLE_1)
	s_and_saveexec_b32 s12, s13
	s_cbranch_execz .LBB52_18
; %bb.17:
	v_bcnt_u32_b32 v0, v0, 0
	ds_store_b32 v23, v0 offset:16
.LBB52_18:
	s_or_b32 exec_lo, exec_lo, s12
	; wave barrier
	s_waitcnt lgkmcnt(0)
	s_barrier
	buffer_gl0_inv
	ds_load_2addr_b64 v[4:7], v13 offset0:2 offset1:3
	ds_load_2addr_b64 v[0:3], v14 offset0:2 offset1:3
	s_waitcnt lgkmcnt(1)
	v_add_nc_u32_e32 v24, v5, v4
	s_delay_alu instid0(VALU_DEP_1) | instskip(SKIP_1) | instid1(VALU_DEP_1)
	v_add3_u32 v24, v24, v6, v7
	s_waitcnt lgkmcnt(0)
	v_add3_u32 v24, v24, v0, v1
	s_delay_alu instid0(VALU_DEP_1) | instskip(NEXT) | instid1(VALU_DEP_1)
	v_add3_u32 v3, v24, v2, v3
	v_mov_b32_dpp v24, v3 row_shr:1 row_mask:0xf bank_mask:0xf
	s_delay_alu instid0(VALU_DEP_1) | instskip(NEXT) | instid1(VALU_DEP_1)
	v_cndmask_b32_e64 v24, v24, 0, s10
	v_add_nc_u32_e32 v3, v24, v3
	s_delay_alu instid0(VALU_DEP_1) | instskip(NEXT) | instid1(VALU_DEP_1)
	v_mov_b32_dpp v24, v3 row_shr:2 row_mask:0xf bank_mask:0xf
	v_cndmask_b32_e64 v24, 0, v24, s9
	s_delay_alu instid0(VALU_DEP_1) | instskip(NEXT) | instid1(VALU_DEP_1)
	v_add_nc_u32_e32 v3, v3, v24
	v_mov_b32_dpp v24, v3 row_shr:4 row_mask:0xf bank_mask:0xf
	s_delay_alu instid0(VALU_DEP_1) | instskip(NEXT) | instid1(VALU_DEP_1)
	v_cndmask_b32_e64 v24, 0, v24, s8
	v_add_nc_u32_e32 v3, v3, v24
	s_delay_alu instid0(VALU_DEP_1) | instskip(NEXT) | instid1(VALU_DEP_1)
	v_mov_b32_dpp v24, v3 row_shr:8 row_mask:0xf bank_mask:0xf
	v_cndmask_b32_e64 v24, 0, v24, s7
	s_delay_alu instid0(VALU_DEP_1) | instskip(SKIP_3) | instid1(VALU_DEP_1)
	v_add_nc_u32_e32 v3, v3, v24
	ds_swizzle_b32 v24, v3 offset:swizzle(BROADCAST,32,15)
	s_waitcnt lgkmcnt(0)
	v_cndmask_b32_e64 v24, v24, 0, s6
	v_add_nc_u32_e32 v3, v3, v24
	s_and_saveexec_b32 s12, s11
	s_cbranch_execz .LBB52_20
; %bb.19:
	ds_store_b32 v17, v3
.LBB52_20:
	s_or_b32 exec_lo, exec_lo, s12
	s_waitcnt lgkmcnt(0)
	s_barrier
	buffer_gl0_inv
	s_and_saveexec_b32 s12, s3
	s_cbranch_execz .LBB52_22
; %bb.21:
	ds_load_b32 v24, v12
	s_waitcnt lgkmcnt(0)
	v_mov_b32_dpp v25, v24 row_shr:1 row_mask:0xf bank_mask:0xf
	s_delay_alu instid0(VALU_DEP_1) | instskip(NEXT) | instid1(VALU_DEP_1)
	v_cndmask_b32_e64 v25, v25, 0, s4
	v_add_nc_u32_e32 v24, v25, v24
	s_delay_alu instid0(VALU_DEP_1) | instskip(NEXT) | instid1(VALU_DEP_1)
	v_mov_b32_dpp v25, v24 row_shr:2 row_mask:0xf bank_mask:0xf
	v_cndmask_b32_e64 v25, 0, v25, s5
	s_delay_alu instid0(VALU_DEP_1)
	v_add_nc_u32_e32 v24, v24, v25
	ds_store_b32 v12, v24
.LBB52_22:
	s_or_b32 exec_lo, exec_lo, s12
	v_mov_b32_e32 v24, 0
	s_waitcnt lgkmcnt(0)
	s_barrier
	buffer_gl0_inv
	s_and_saveexec_b32 s12, s2
	s_cbranch_execz .LBB52_24
; %bb.23:
	ds_load_b32 v24, v16
.LBB52_24:
	s_or_b32 exec_lo, exec_lo, s12
	s_mov_b32 s12, 0
	s_delay_alu instid0(SALU_CYCLE_1)
	s_mov_b32 s13, s12
	s_waitcnt lgkmcnt(0)
	v_add_nc_u32_e32 v3, v24, v3
	s_mov_b32 s14, s12
	s_mov_b32 s15, s12
	ds_bpermute_b32 v3, v15, v3
	s_waitcnt lgkmcnt(0)
	v_cndmask_b32_e64 v3, v3, v24, s0
	s_delay_alu instid0(VALU_DEP_1) | instskip(NEXT) | instid1(VALU_DEP_1)
	v_cndmask_b32_e64 v3, v3, 0, s1
	v_add_nc_u32_e32 v4, v3, v4
	s_delay_alu instid0(VALU_DEP_1) | instskip(NEXT) | instid1(VALU_DEP_1)
	v_add_nc_u32_e32 v5, v4, v5
	v_add_nc_u32_e32 v6, v5, v6
	s_delay_alu instid0(VALU_DEP_1) | instskip(NEXT) | instid1(VALU_DEP_1)
	v_add_nc_u32_e32 v24, v6, v7
	;; [unrolled: 3-line block ×3, first 2 shown]
	v_add_nc_u32_e32 v1, v0, v2
	ds_store_2addr_b64 v13, v[3:4], v[5:6] offset0:2 offset1:3
	ds_store_2addr_b64 v14, v[24:25], v[0:1] offset0:2 offset1:3
	s_waitcnt lgkmcnt(0)
	s_barrier
	buffer_gl0_inv
	ds_load_b32 v0, v23 offset:16
	v_lshlrev_b32_e32 v1, 2, v22
	s_waitcnt lgkmcnt(0)
	s_barrier
	buffer_gl0_inv
	v_lshl_add_u32 v0, v0, 2, v1
	v_dual_mov_b32 v1, s12 :: v_dual_mov_b32 v2, s13
	ds_store_b32 v0, v21
	s_waitcnt lgkmcnt(0)
	s_barrier
	buffer_gl0_inv
	ds_load_b32 v21, v19
	s_waitcnt lgkmcnt(0)
	s_barrier
	buffer_gl0_inv
	ds_store_b32 v0, v20
	s_waitcnt lgkmcnt(0)
	s_barrier
	buffer_gl0_inv
	v_bfe_u32 v3, v21, 8, 1
	v_lshrrev_b32_e32 v4, 8, v21
	s_delay_alu instid0(VALU_DEP_2) | instskip(NEXT) | instid1(VALU_DEP_1)
	v_add_co_u32 v3, s12, v3, -1
	v_cndmask_b32_e64 v5, 0, 1, s12
	s_delay_alu instid0(VALU_DEP_3)
	v_lshlrev_b32_e32 v6, 30, v4
	v_lshlrev_b32_e32 v7, 29, v4
	;; [unrolled: 1-line block ×4, first 2 shown]
	v_cmp_ne_u32_e32 vcc_lo, 0, v5
	v_not_b32_e32 v5, v6
	v_cmp_gt_i32_e64 s12, 0, v6
	v_not_b32_e32 v6, v7
	v_lshlrev_b32_e32 v24, 26, v4
	v_xor_b32_e32 v3, vcc_lo, v3
	v_ashrrev_i32_e32 v5, 31, v5
	v_cmp_gt_i32_e32 vcc_lo, 0, v7
	v_not_b32_e32 v7, v22
	v_ashrrev_i32_e32 v6, 31, v6
	v_and_b32_e32 v3, exec_lo, v3
	v_xor_b32_e32 v5, s12, v5
	v_cmp_gt_i32_e64 s12, 0, v22
	v_not_b32_e32 v22, v23
	v_ashrrev_i32_e32 v7, 31, v7
	v_xor_b32_e32 v6, vcc_lo, v6
	v_and_b32_e32 v3, v3, v5
	v_lshlrev_b32_e32 v25, 25, v4
	v_cmp_gt_i32_e32 vcc_lo, 0, v23
	v_not_b32_e32 v5, v24
	v_ashrrev_i32_e32 v22, 31, v22
	v_xor_b32_e32 v7, s12, v7
	v_and_b32_e32 v3, v3, v6
	v_lshlrev_b32_e32 v4, 24, v4
	v_cmp_gt_i32_e64 s12, 0, v24
	v_not_b32_e32 v6, v25
	v_ashrrev_i32_e32 v5, 31, v5
	v_xor_b32_e32 v22, vcc_lo, v22
	v_and_b32_e32 v3, v3, v7
	v_cmp_gt_i32_e32 vcc_lo, 0, v25
	v_not_b32_e32 v7, v4
	v_ashrrev_i32_e32 v6, 31, v6
	v_xor_b32_e32 v5, s12, v5
	v_and_b32_e32 v3, v3, v22
	v_cmp_gt_i32_e64 s12, 0, v4
	v_ashrrev_i32_e32 v4, 31, v7
	v_xor_b32_e32 v6, vcc_lo, v6
	ds_load_b32 v22, v19
	v_and_b32_e32 v3, v3, v5
	s_waitcnt lgkmcnt(0)
	v_xor_b32_e32 v0, s12, v4
	s_barrier
	buffer_gl0_inv
	v_and_b32_e32 v5, v3, v6
	v_dual_mov_b32 v3, s14 :: v_dual_mov_b32 v4, s15
	ds_store_2addr_b64 v13, v[1:2], v[3:4] offset0:2 offset1:3
	ds_store_2addr_b64 v14, v[1:2], v[3:4] offset0:2 offset1:3
	v_and_b32_e32 v0, v5, v0
	v_lshrrev_b32_e32 v5, 6, v21
	s_waitcnt lgkmcnt(0)
	s_barrier
	buffer_gl0_inv
	v_mbcnt_lo_u32_b32 v20, v0, 0
	v_and_b32_e32 v1, 0x3fc, v5
	v_cmp_ne_u32_e64 s12, 0, v0
	; wave barrier
	s_delay_alu instid0(VALU_DEP_3) | instskip(NEXT) | instid1(VALU_DEP_3)
	v_cmp_eq_u32_e32 vcc_lo, 0, v20
	v_add_lshl_u32 v23, v1, v18, 2
	s_delay_alu instid0(VALU_DEP_3) | instskip(NEXT) | instid1(SALU_CYCLE_1)
	s_and_b32 s13, s12, vcc_lo
	s_and_saveexec_b32 s12, s13
	s_cbranch_execz .LBB52_26
; %bb.25:
	v_bcnt_u32_b32 v0, v0, 0
	ds_store_b32 v23, v0 offset:16
.LBB52_26:
	s_or_b32 exec_lo, exec_lo, s12
	; wave barrier
	s_waitcnt lgkmcnt(0)
	s_barrier
	buffer_gl0_inv
	ds_load_2addr_b64 v[4:7], v13 offset0:2 offset1:3
	ds_load_2addr_b64 v[0:3], v14 offset0:2 offset1:3
	s_waitcnt lgkmcnt(1)
	v_add_nc_u32_e32 v24, v5, v4
	s_delay_alu instid0(VALU_DEP_1) | instskip(SKIP_1) | instid1(VALU_DEP_1)
	v_add3_u32 v24, v24, v6, v7
	s_waitcnt lgkmcnt(0)
	v_add3_u32 v24, v24, v0, v1
	s_delay_alu instid0(VALU_DEP_1) | instskip(NEXT) | instid1(VALU_DEP_1)
	v_add3_u32 v3, v24, v2, v3
	v_mov_b32_dpp v24, v3 row_shr:1 row_mask:0xf bank_mask:0xf
	s_delay_alu instid0(VALU_DEP_1) | instskip(NEXT) | instid1(VALU_DEP_1)
	v_cndmask_b32_e64 v24, v24, 0, s10
	v_add_nc_u32_e32 v3, v24, v3
	s_delay_alu instid0(VALU_DEP_1) | instskip(NEXT) | instid1(VALU_DEP_1)
	v_mov_b32_dpp v24, v3 row_shr:2 row_mask:0xf bank_mask:0xf
	v_cndmask_b32_e64 v24, 0, v24, s9
	s_delay_alu instid0(VALU_DEP_1) | instskip(NEXT) | instid1(VALU_DEP_1)
	v_add_nc_u32_e32 v3, v3, v24
	v_mov_b32_dpp v24, v3 row_shr:4 row_mask:0xf bank_mask:0xf
	s_delay_alu instid0(VALU_DEP_1) | instskip(NEXT) | instid1(VALU_DEP_1)
	v_cndmask_b32_e64 v24, 0, v24, s8
	v_add_nc_u32_e32 v3, v3, v24
	s_delay_alu instid0(VALU_DEP_1) | instskip(NEXT) | instid1(VALU_DEP_1)
	v_mov_b32_dpp v24, v3 row_shr:8 row_mask:0xf bank_mask:0xf
	v_cndmask_b32_e64 v24, 0, v24, s7
	s_delay_alu instid0(VALU_DEP_1) | instskip(SKIP_3) | instid1(VALU_DEP_1)
	v_add_nc_u32_e32 v3, v3, v24
	ds_swizzle_b32 v24, v3 offset:swizzle(BROADCAST,32,15)
	s_waitcnt lgkmcnt(0)
	v_cndmask_b32_e64 v24, v24, 0, s6
	v_add_nc_u32_e32 v3, v3, v24
	s_and_saveexec_b32 s12, s11
	s_cbranch_execz .LBB52_28
; %bb.27:
	ds_store_b32 v17, v3
.LBB52_28:
	s_or_b32 exec_lo, exec_lo, s12
	s_waitcnt lgkmcnt(0)
	s_barrier
	buffer_gl0_inv
	s_and_saveexec_b32 s12, s3
	s_cbranch_execz .LBB52_30
; %bb.29:
	ds_load_b32 v24, v12
	s_waitcnt lgkmcnt(0)
	v_mov_b32_dpp v25, v24 row_shr:1 row_mask:0xf bank_mask:0xf
	s_delay_alu instid0(VALU_DEP_1) | instskip(NEXT) | instid1(VALU_DEP_1)
	v_cndmask_b32_e64 v25, v25, 0, s4
	v_add_nc_u32_e32 v24, v25, v24
	s_delay_alu instid0(VALU_DEP_1) | instskip(NEXT) | instid1(VALU_DEP_1)
	v_mov_b32_dpp v25, v24 row_shr:2 row_mask:0xf bank_mask:0xf
	v_cndmask_b32_e64 v25, 0, v25, s5
	s_delay_alu instid0(VALU_DEP_1)
	v_add_nc_u32_e32 v24, v24, v25
	ds_store_b32 v12, v24
.LBB52_30:
	s_or_b32 exec_lo, exec_lo, s12
	v_mov_b32_e32 v24, 0
	s_waitcnt lgkmcnt(0)
	s_barrier
	buffer_gl0_inv
	s_and_saveexec_b32 s12, s2
	s_cbranch_execz .LBB52_32
; %bb.31:
	ds_load_b32 v24, v16
.LBB52_32:
	s_or_b32 exec_lo, exec_lo, s12
	s_mov_b32 s12, 0
	s_delay_alu instid0(SALU_CYCLE_1)
	s_mov_b32 s13, s12
	s_waitcnt lgkmcnt(0)
	v_add_nc_u32_e32 v3, v24, v3
	s_mov_b32 s14, s12
	s_mov_b32 s15, s12
	ds_bpermute_b32 v3, v15, v3
	s_waitcnt lgkmcnt(0)
	v_cndmask_b32_e64 v3, v3, v24, s0
	s_delay_alu instid0(VALU_DEP_1) | instskip(NEXT) | instid1(VALU_DEP_1)
	v_cndmask_b32_e64 v3, v3, 0, s1
	v_add_nc_u32_e32 v4, v3, v4
	s_delay_alu instid0(VALU_DEP_1) | instskip(NEXT) | instid1(VALU_DEP_1)
	v_add_nc_u32_e32 v5, v4, v5
	v_add_nc_u32_e32 v6, v5, v6
	s_delay_alu instid0(VALU_DEP_1) | instskip(NEXT) | instid1(VALU_DEP_1)
	v_add_nc_u32_e32 v24, v6, v7
	;; [unrolled: 3-line block ×3, first 2 shown]
	v_add_nc_u32_e32 v1, v0, v2
	ds_store_2addr_b64 v13, v[3:4], v[5:6] offset0:2 offset1:3
	ds_store_2addr_b64 v14, v[24:25], v[0:1] offset0:2 offset1:3
	s_waitcnt lgkmcnt(0)
	s_barrier
	buffer_gl0_inv
	ds_load_b32 v0, v23 offset:16
	v_lshlrev_b32_e32 v1, 2, v20
	s_waitcnt lgkmcnt(0)
	s_barrier
	buffer_gl0_inv
	v_lshl_add_u32 v0, v0, 2, v1
	v_dual_mov_b32 v1, s12 :: v_dual_mov_b32 v2, s13
	ds_store_b32 v0, v21
	s_waitcnt lgkmcnt(0)
	s_barrier
	buffer_gl0_inv
	ds_load_b32 v20, v19
	s_waitcnt lgkmcnt(0)
	s_barrier
	buffer_gl0_inv
	ds_store_b32 v0, v22
	s_waitcnt lgkmcnt(0)
	s_barrier
	buffer_gl0_inv
	v_bfe_u32 v3, v20, 16, 1
	v_lshrrev_b32_e32 v4, 16, v20
	s_delay_alu instid0(VALU_DEP_2) | instskip(NEXT) | instid1(VALU_DEP_1)
	v_add_co_u32 v3, s12, v3, -1
	v_cndmask_b32_e64 v5, 0, 1, s12
	s_delay_alu instid0(VALU_DEP_3)
	v_lshlrev_b32_e32 v6, 30, v4
	v_lshlrev_b32_e32 v7, 29, v4
	;; [unrolled: 1-line block ×4, first 2 shown]
	v_cmp_ne_u32_e32 vcc_lo, 0, v5
	v_not_b32_e32 v5, v6
	v_cmp_gt_i32_e64 s12, 0, v6
	v_not_b32_e32 v6, v7
	v_lshlrev_b32_e32 v24, 26, v4
	v_xor_b32_e32 v3, vcc_lo, v3
	v_ashrrev_i32_e32 v5, 31, v5
	v_cmp_gt_i32_e32 vcc_lo, 0, v7
	v_not_b32_e32 v7, v21
	v_ashrrev_i32_e32 v6, 31, v6
	v_and_b32_e32 v3, exec_lo, v3
	v_xor_b32_e32 v5, s12, v5
	v_cmp_gt_i32_e64 s12, 0, v21
	v_not_b32_e32 v21, v23
	v_ashrrev_i32_e32 v7, 31, v7
	v_xor_b32_e32 v6, vcc_lo, v6
	v_and_b32_e32 v3, v3, v5
	v_lshlrev_b32_e32 v25, 25, v4
	v_cmp_gt_i32_e32 vcc_lo, 0, v23
	v_not_b32_e32 v5, v24
	v_ashrrev_i32_e32 v21, 31, v21
	v_xor_b32_e32 v7, s12, v7
	v_and_b32_e32 v3, v3, v6
	v_lshlrev_b32_e32 v4, 24, v4
	v_cmp_gt_i32_e64 s12, 0, v24
	v_not_b32_e32 v6, v25
	v_ashrrev_i32_e32 v5, 31, v5
	v_xor_b32_e32 v21, vcc_lo, v21
	v_and_b32_e32 v3, v3, v7
	v_cmp_gt_i32_e32 vcc_lo, 0, v25
	v_not_b32_e32 v7, v4
	v_ashrrev_i32_e32 v6, 31, v6
	v_xor_b32_e32 v5, s12, v5
	v_and_b32_e32 v3, v3, v21
	v_cmp_gt_i32_e64 s12, 0, v4
	v_ashrrev_i32_e32 v4, 31, v7
	v_xor_b32_e32 v6, vcc_lo, v6
	ds_load_b32 v21, v19
	v_and_b32_e32 v3, v3, v5
	s_waitcnt lgkmcnt(0)
	v_xor_b32_e32 v0, s12, v4
	s_barrier
	buffer_gl0_inv
	v_and_b32_e32 v5, v3, v6
	v_dual_mov_b32 v3, s14 :: v_dual_mov_b32 v4, s15
	ds_store_2addr_b64 v13, v[1:2], v[3:4] offset0:2 offset1:3
	ds_store_2addr_b64 v14, v[1:2], v[3:4] offset0:2 offset1:3
	v_and_b32_e32 v0, v5, v0
	v_lshrrev_b32_e32 v5, 14, v20
	s_waitcnt lgkmcnt(0)
	s_barrier
	buffer_gl0_inv
	v_mbcnt_lo_u32_b32 v22, v0, 0
	v_and_b32_e32 v1, 0x3fc, v5
	v_cmp_ne_u32_e64 s12, 0, v0
	; wave barrier
	s_delay_alu instid0(VALU_DEP_3) | instskip(NEXT) | instid1(VALU_DEP_3)
	v_cmp_eq_u32_e32 vcc_lo, 0, v22
	v_add_lshl_u32 v23, v1, v18, 2
	s_delay_alu instid0(VALU_DEP_3) | instskip(NEXT) | instid1(SALU_CYCLE_1)
	s_and_b32 s13, s12, vcc_lo
	s_and_saveexec_b32 s12, s13
	s_cbranch_execz .LBB52_34
; %bb.33:
	v_bcnt_u32_b32 v0, v0, 0
	ds_store_b32 v23, v0 offset:16
.LBB52_34:
	s_or_b32 exec_lo, exec_lo, s12
	; wave barrier
	s_waitcnt lgkmcnt(0)
	s_barrier
	buffer_gl0_inv
	ds_load_2addr_b64 v[4:7], v13 offset0:2 offset1:3
	ds_load_2addr_b64 v[0:3], v14 offset0:2 offset1:3
	s_waitcnt lgkmcnt(1)
	v_add_nc_u32_e32 v24, v5, v4
	s_delay_alu instid0(VALU_DEP_1) | instskip(SKIP_1) | instid1(VALU_DEP_1)
	v_add3_u32 v24, v24, v6, v7
	s_waitcnt lgkmcnt(0)
	v_add3_u32 v24, v24, v0, v1
	s_delay_alu instid0(VALU_DEP_1) | instskip(NEXT) | instid1(VALU_DEP_1)
	v_add3_u32 v3, v24, v2, v3
	v_mov_b32_dpp v24, v3 row_shr:1 row_mask:0xf bank_mask:0xf
	s_delay_alu instid0(VALU_DEP_1) | instskip(NEXT) | instid1(VALU_DEP_1)
	v_cndmask_b32_e64 v24, v24, 0, s10
	v_add_nc_u32_e32 v3, v24, v3
	s_delay_alu instid0(VALU_DEP_1) | instskip(NEXT) | instid1(VALU_DEP_1)
	v_mov_b32_dpp v24, v3 row_shr:2 row_mask:0xf bank_mask:0xf
	v_cndmask_b32_e64 v24, 0, v24, s9
	s_delay_alu instid0(VALU_DEP_1) | instskip(NEXT) | instid1(VALU_DEP_1)
	v_add_nc_u32_e32 v3, v3, v24
	v_mov_b32_dpp v24, v3 row_shr:4 row_mask:0xf bank_mask:0xf
	s_delay_alu instid0(VALU_DEP_1) | instskip(NEXT) | instid1(VALU_DEP_1)
	v_cndmask_b32_e64 v24, 0, v24, s8
	v_add_nc_u32_e32 v3, v3, v24
	s_delay_alu instid0(VALU_DEP_1) | instskip(NEXT) | instid1(VALU_DEP_1)
	v_mov_b32_dpp v24, v3 row_shr:8 row_mask:0xf bank_mask:0xf
	v_cndmask_b32_e64 v24, 0, v24, s7
	s_delay_alu instid0(VALU_DEP_1) | instskip(SKIP_3) | instid1(VALU_DEP_1)
	v_add_nc_u32_e32 v3, v3, v24
	ds_swizzle_b32 v24, v3 offset:swizzle(BROADCAST,32,15)
	s_waitcnt lgkmcnt(0)
	v_cndmask_b32_e64 v24, v24, 0, s6
	v_add_nc_u32_e32 v3, v3, v24
	s_and_saveexec_b32 s12, s11
	s_cbranch_execz .LBB52_36
; %bb.35:
	ds_store_b32 v17, v3
.LBB52_36:
	s_or_b32 exec_lo, exec_lo, s12
	s_waitcnt lgkmcnt(0)
	s_barrier
	buffer_gl0_inv
	s_and_saveexec_b32 s12, s3
	s_cbranch_execz .LBB52_38
; %bb.37:
	ds_load_b32 v24, v12
	s_waitcnt lgkmcnt(0)
	v_mov_b32_dpp v25, v24 row_shr:1 row_mask:0xf bank_mask:0xf
	s_delay_alu instid0(VALU_DEP_1) | instskip(NEXT) | instid1(VALU_DEP_1)
	v_cndmask_b32_e64 v25, v25, 0, s4
	v_add_nc_u32_e32 v24, v25, v24
	s_delay_alu instid0(VALU_DEP_1) | instskip(NEXT) | instid1(VALU_DEP_1)
	v_mov_b32_dpp v25, v24 row_shr:2 row_mask:0xf bank_mask:0xf
	v_cndmask_b32_e64 v25, 0, v25, s5
	s_delay_alu instid0(VALU_DEP_1)
	v_add_nc_u32_e32 v24, v24, v25
	ds_store_b32 v12, v24
.LBB52_38:
	s_or_b32 exec_lo, exec_lo, s12
	v_mov_b32_e32 v24, 0
	s_waitcnt lgkmcnt(0)
	s_barrier
	buffer_gl0_inv
	s_and_saveexec_b32 s12, s2
	s_cbranch_execz .LBB52_40
; %bb.39:
	ds_load_b32 v24, v16
.LBB52_40:
	s_or_b32 exec_lo, exec_lo, s12
	s_mov_b32 s14, 0
	s_delay_alu instid0(SALU_CYCLE_1)
	s_mov_b32 s15, s14
	s_waitcnt lgkmcnt(0)
	v_add_nc_u32_e32 v3, v24, v3
	s_mov_b32 s16, s14
	s_mov_b32 s17, s14
	ds_bpermute_b32 v3, v15, v3
	s_waitcnt lgkmcnt(0)
	v_cndmask_b32_e64 v3, v3, v24, s0
	s_delay_alu instid0(VALU_DEP_1) | instskip(NEXT) | instid1(VALU_DEP_1)
	v_cndmask_b32_e64 v3, v3, 0, s1
	v_add_nc_u32_e32 v4, v3, v4
	s_delay_alu instid0(VALU_DEP_1) | instskip(NEXT) | instid1(VALU_DEP_1)
	v_add_nc_u32_e32 v5, v4, v5
	v_add_nc_u32_e32 v6, v5, v6
	s_delay_alu instid0(VALU_DEP_1) | instskip(NEXT) | instid1(VALU_DEP_1)
	v_add_nc_u32_e32 v24, v6, v7
	;; [unrolled: 3-line block ×3, first 2 shown]
	v_add_nc_u32_e32 v1, v0, v2
	ds_store_2addr_b64 v13, v[3:4], v[5:6] offset0:2 offset1:3
	ds_store_2addr_b64 v14, v[24:25], v[0:1] offset0:2 offset1:3
	s_waitcnt lgkmcnt(0)
	s_barrier
	buffer_gl0_inv
	ds_load_b32 v0, v23 offset:16
	v_lshlrev_b32_e32 v1, 2, v22
	s_waitcnt lgkmcnt(0)
	s_barrier
	buffer_gl0_inv
	v_lshl_add_u32 v0, v0, 2, v1
	ds_store_b32 v0, v20
	s_waitcnt lgkmcnt(0)
	s_barrier
	buffer_gl0_inv
	ds_load_b32 v20, v19
	s_waitcnt lgkmcnt(0)
	s_barrier
	buffer_gl0_inv
	ds_store_b32 v0, v21
	s_waitcnt lgkmcnt(0)
	s_barrier
	buffer_gl0_inv
	ds_load_b32 v19, v19
	s_waitcnt lgkmcnt(0)
	s_barrier
	buffer_gl0_inv
	v_bfe_u32 v1, v20, 24, 1
	v_lshrrev_b32_e32 v5, 24, v20
	s_delay_alu instid0(VALU_DEP_2) | instskip(NEXT) | instid1(VALU_DEP_1)
	v_add_co_u32 v1, s12, v1, -1
	v_cndmask_b32_e64 v2, 0, 1, s12
	s_delay_alu instid0(VALU_DEP_3)
	v_lshlrev_b32_e32 v3, 30, v5
	v_lshlrev_b32_e32 v4, 29, v5
	;; [unrolled: 1-line block ×4, first 2 shown]
	v_cmp_ne_u32_e32 vcc_lo, 0, v2
	v_not_b32_e32 v2, v3
	v_cmp_gt_i32_e64 s12, 0, v3
	v_not_b32_e32 v3, v4
	v_lshlrev_b32_e32 v22, 26, v5
	v_xor_b32_e32 v1, vcc_lo, v1
	v_ashrrev_i32_e32 v2, 31, v2
	v_cmp_gt_i32_e32 vcc_lo, 0, v4
	v_not_b32_e32 v4, v6
	v_ashrrev_i32_e32 v3, 31, v3
	v_and_b32_e32 v1, exec_lo, v1
	v_xor_b32_e32 v2, s12, v2
	v_cmp_gt_i32_e64 s12, 0, v6
	v_not_b32_e32 v6, v7
	v_ashrrev_i32_e32 v4, 31, v4
	v_xor_b32_e32 v3, vcc_lo, v3
	v_and_b32_e32 v1, v1, v2
	v_lshlrev_b32_e32 v23, 25, v5
	v_cmp_gt_i32_e32 vcc_lo, 0, v7
	v_not_b32_e32 v2, v22
	v_ashrrev_i32_e32 v6, 31, v6
	v_xor_b32_e32 v4, s12, v4
	v_and_b32_e32 v1, v1, v3
	v_cmp_gt_i32_e64 s12, 0, v22
	v_not_b32_e32 v3, v23
	v_ashrrev_i32_e32 v2, 31, v2
	v_xor_b32_e32 v6, vcc_lo, v6
	v_and_b32_e32 v1, v1, v4
	v_not_b32_e32 v4, v20
	v_cmp_gt_i32_e32 vcc_lo, 0, v23
	v_ashrrev_i32_e32 v3, 31, v3
	v_xor_b32_e32 v2, s12, v2
	v_and_b32_e32 v1, v1, v6
	v_cmp_gt_i32_e64 s12, 0, v20
	v_ashrrev_i32_e32 v4, 31, v4
	v_xor_b32_e32 v3, vcc_lo, v3
	s_delay_alu instid0(VALU_DEP_4) | instskip(NEXT) | instid1(VALU_DEP_3)
	v_and_b32_e32 v1, v1, v2
	v_xor_b32_e32 v0, s12, v4
	s_delay_alu instid0(VALU_DEP_2) | instskip(SKIP_1) | instid1(VALU_DEP_2)
	v_and_b32_e32 v3, v1, v3
	v_dual_mov_b32 v1, s14 :: v_dual_mov_b32 v2, s15
	v_dual_mov_b32 v3, s16 :: v_dual_and_b32 v0, v3, v0
	v_mov_b32_e32 v4, s17
	ds_store_2addr_b64 v13, v[1:2], v[3:4] offset0:2 offset1:3
	ds_store_2addr_b64 v14, v[1:2], v[3:4] offset0:2 offset1:3
	v_mbcnt_lo_u32_b32 v21, v0, 0
	v_lshlrev_b32_e32 v1, 2, v5
	v_cmp_ne_u32_e64 s12, 0, v0
	s_waitcnt lgkmcnt(0)
	s_barrier
	v_cmp_eq_u32_e32 vcc_lo, 0, v21
	v_add_lshl_u32 v18, v1, v18, 2
	buffer_gl0_inv
	; wave barrier
	s_and_b32 s13, s12, vcc_lo
	s_delay_alu instid0(SALU_CYCLE_1)
	s_and_saveexec_b32 s12, s13
	s_cbranch_execz .LBB52_42
; %bb.41:
	v_bcnt_u32_b32 v0, v0, 0
	ds_store_b32 v18, v0 offset:16
.LBB52_42:
	s_or_b32 exec_lo, exec_lo, s12
	; wave barrier
	s_waitcnt lgkmcnt(0)
	s_barrier
	buffer_gl0_inv
	ds_load_2addr_b64 v[4:7], v13 offset0:2 offset1:3
	ds_load_2addr_b64 v[0:3], v14 offset0:2 offset1:3
	s_waitcnt lgkmcnt(1)
	v_add_nc_u32_e32 v22, v5, v4
	s_delay_alu instid0(VALU_DEP_1) | instskip(SKIP_1) | instid1(VALU_DEP_1)
	v_add3_u32 v22, v22, v6, v7
	s_waitcnt lgkmcnt(0)
	v_add3_u32 v22, v22, v0, v1
	s_delay_alu instid0(VALU_DEP_1) | instskip(NEXT) | instid1(VALU_DEP_1)
	v_add3_u32 v3, v22, v2, v3
	v_mov_b32_dpp v22, v3 row_shr:1 row_mask:0xf bank_mask:0xf
	s_delay_alu instid0(VALU_DEP_1) | instskip(NEXT) | instid1(VALU_DEP_1)
	v_cndmask_b32_e64 v22, v22, 0, s10
	v_add_nc_u32_e32 v3, v22, v3
	s_delay_alu instid0(VALU_DEP_1) | instskip(NEXT) | instid1(VALU_DEP_1)
	v_mov_b32_dpp v22, v3 row_shr:2 row_mask:0xf bank_mask:0xf
	v_cndmask_b32_e64 v22, 0, v22, s9
	s_delay_alu instid0(VALU_DEP_1) | instskip(NEXT) | instid1(VALU_DEP_1)
	v_add_nc_u32_e32 v3, v3, v22
	v_mov_b32_dpp v22, v3 row_shr:4 row_mask:0xf bank_mask:0xf
	s_delay_alu instid0(VALU_DEP_1) | instskip(NEXT) | instid1(VALU_DEP_1)
	v_cndmask_b32_e64 v22, 0, v22, s8
	v_add_nc_u32_e32 v3, v3, v22
	s_delay_alu instid0(VALU_DEP_1) | instskip(NEXT) | instid1(VALU_DEP_1)
	v_mov_b32_dpp v22, v3 row_shr:8 row_mask:0xf bank_mask:0xf
	v_cndmask_b32_e64 v22, 0, v22, s7
	s_delay_alu instid0(VALU_DEP_1) | instskip(SKIP_3) | instid1(VALU_DEP_1)
	v_add_nc_u32_e32 v3, v3, v22
	ds_swizzle_b32 v22, v3 offset:swizzle(BROADCAST,32,15)
	s_waitcnt lgkmcnt(0)
	v_cndmask_b32_e64 v22, v22, 0, s6
	v_add_nc_u32_e32 v3, v3, v22
	s_and_saveexec_b32 s6, s11
	s_cbranch_execz .LBB52_44
; %bb.43:
	ds_store_b32 v17, v3
.LBB52_44:
	s_or_b32 exec_lo, exec_lo, s6
	s_waitcnt lgkmcnt(0)
	s_barrier
	buffer_gl0_inv
	s_and_saveexec_b32 s6, s3
	s_cbranch_execz .LBB52_46
; %bb.45:
	ds_load_b32 v17, v12
	s_waitcnt lgkmcnt(0)
	v_mov_b32_dpp v22, v17 row_shr:1 row_mask:0xf bank_mask:0xf
	s_delay_alu instid0(VALU_DEP_1) | instskip(NEXT) | instid1(VALU_DEP_1)
	v_cndmask_b32_e64 v22, v22, 0, s4
	v_add_nc_u32_e32 v17, v22, v17
	s_delay_alu instid0(VALU_DEP_1) | instskip(NEXT) | instid1(VALU_DEP_1)
	v_mov_b32_dpp v22, v17 row_shr:2 row_mask:0xf bank_mask:0xf
	v_cndmask_b32_e64 v22, 0, v22, s5
	s_delay_alu instid0(VALU_DEP_1)
	v_add_nc_u32_e32 v17, v17, v22
	ds_store_b32 v12, v17
.LBB52_46:
	s_or_b32 exec_lo, exec_lo, s6
	v_mov_b32_e32 v17, 0
	s_waitcnt lgkmcnt(0)
	s_barrier
	buffer_gl0_inv
	s_and_saveexec_b32 s3, s2
	s_cbranch_execz .LBB52_48
; %bb.47:
	ds_load_b32 v17, v16
.LBB52_48:
	s_or_b32 exec_lo, exec_lo, s3
	s_waitcnt lgkmcnt(0)
	v_add_nc_u32_e32 v3, v17, v3
	ds_bpermute_b32 v3, v15, v3
	s_waitcnt lgkmcnt(0)
	v_cndmask_b32_e64 v3, v3, v17, s0
	s_delay_alu instid0(VALU_DEP_1) | instskip(NEXT) | instid1(VALU_DEP_1)
	v_cndmask_b32_e64 v3, v3, 0, s1
	v_add_nc_u32_e32 v4, v3, v4
	s_delay_alu instid0(VALU_DEP_1) | instskip(NEXT) | instid1(VALU_DEP_1)
	v_add_nc_u32_e32 v5, v4, v5
	v_add_nc_u32_e32 v6, v5, v6
	s_delay_alu instid0(VALU_DEP_1) | instskip(NEXT) | instid1(VALU_DEP_1)
	v_add_nc_u32_e32 v15, v6, v7
	;; [unrolled: 3-line block ×3, first 2 shown]
	v_add_nc_u32_e32 v1, v0, v2
	ds_store_2addr_b64 v13, v[3:4], v[5:6] offset0:2 offset1:3
	ds_store_2addr_b64 v14, v[15:16], v[0:1] offset0:2 offset1:3
	s_waitcnt lgkmcnt(0)
	s_barrier
	buffer_gl0_inv
	ds_load_b32 v0, v18 offset:16
	v_lshlrev_b32_e32 v1, 2, v21
	s_waitcnt lgkmcnt(0)
	s_barrier
	buffer_gl0_inv
	v_lshl_add_u32 v1, v0, 2, v1
	ds_store_b32 v1, v20
	s_waitcnt lgkmcnt(0)
	s_barrier
	buffer_gl0_inv
	ds_load_b32 v0, v12
	s_waitcnt lgkmcnt(0)
	s_barrier
	buffer_gl0_inv
	ds_store_b32 v1, v19
	s_waitcnt lgkmcnt(0)
	s_barrier
.LBB52_49:
	s_waitcnt vmcnt(0)
	buffer_gl0_inv
	ds_load_b32 v1, v12
	v_xor_b32_e32 v0, 0x80000000, v0
	global_store_b32 v[8:9], v0, off
	s_waitcnt lgkmcnt(0)
	global_store_b32 v[10:11], v1, off
	s_nop 0
	s_sendmsg sendmsg(MSG_DEALLOC_VGPRS)
	s_endpgm
	.section	.rodata,"a",@progbits
	.p2align	6, 0x0
	.amdhsa_kernel _Z21sort_key_value_kernelILj128ELj1ELb0ELb0EiiEvPT3_PT4_jj
		.amdhsa_group_segment_fixed_size 4112
		.amdhsa_private_segment_fixed_size 0
		.amdhsa_kernarg_size 280
		.amdhsa_user_sgpr_count 15
		.amdhsa_user_sgpr_dispatch_ptr 0
		.amdhsa_user_sgpr_queue_ptr 0
		.amdhsa_user_sgpr_kernarg_segment_ptr 1
		.amdhsa_user_sgpr_dispatch_id 0
		.amdhsa_user_sgpr_private_segment_size 0
		.amdhsa_wavefront_size32 1
		.amdhsa_uses_dynamic_stack 0
		.amdhsa_enable_private_segment 0
		.amdhsa_system_sgpr_workgroup_id_x 1
		.amdhsa_system_sgpr_workgroup_id_y 0
		.amdhsa_system_sgpr_workgroup_id_z 0
		.amdhsa_system_sgpr_workgroup_info 0
		.amdhsa_system_vgpr_workitem_id 2
		.amdhsa_next_free_vgpr 30
		.amdhsa_next_free_sgpr 22
		.amdhsa_reserve_vcc 1
		.amdhsa_float_round_mode_32 0
		.amdhsa_float_round_mode_16_64 0
		.amdhsa_float_denorm_mode_32 3
		.amdhsa_float_denorm_mode_16_64 3
		.amdhsa_dx10_clamp 1
		.amdhsa_ieee_mode 1
		.amdhsa_fp16_overflow 0
		.amdhsa_workgroup_processor_mode 1
		.amdhsa_memory_ordered 1
		.amdhsa_forward_progress 0
		.amdhsa_shared_vgpr_count 0
		.amdhsa_exception_fp_ieee_invalid_op 0
		.amdhsa_exception_fp_denorm_src 0
		.amdhsa_exception_fp_ieee_div_zero 0
		.amdhsa_exception_fp_ieee_overflow 0
		.amdhsa_exception_fp_ieee_underflow 0
		.amdhsa_exception_fp_ieee_inexact 0
		.amdhsa_exception_int_div_zero 0
	.end_amdhsa_kernel
	.section	.text._Z21sort_key_value_kernelILj128ELj1ELb0ELb0EiiEvPT3_PT4_jj,"axG",@progbits,_Z21sort_key_value_kernelILj128ELj1ELb0ELb0EiiEvPT3_PT4_jj,comdat
.Lfunc_end52:
	.size	_Z21sort_key_value_kernelILj128ELj1ELb0ELb0EiiEvPT3_PT4_jj, .Lfunc_end52-_Z21sort_key_value_kernelILj128ELj1ELb0ELb0EiiEvPT3_PT4_jj
                                        ; -- End function
	.section	.AMDGPU.csdata,"",@progbits
; Kernel info:
; codeLenInByte = 5516
; NumSgprs: 24
; NumVgprs: 30
; ScratchSize: 0
; MemoryBound: 0
; FloatMode: 240
; IeeeMode: 1
; LDSByteSize: 4112 bytes/workgroup (compile time only)
; SGPRBlocks: 2
; VGPRBlocks: 3
; NumSGPRsForWavesPerEU: 24
; NumVGPRsForWavesPerEU: 30
; Occupancy: 16
; WaveLimiterHint : 0
; COMPUTE_PGM_RSRC2:SCRATCH_EN: 0
; COMPUTE_PGM_RSRC2:USER_SGPR: 15
; COMPUTE_PGM_RSRC2:TRAP_HANDLER: 0
; COMPUTE_PGM_RSRC2:TGID_X_EN: 1
; COMPUTE_PGM_RSRC2:TGID_Y_EN: 0
; COMPUTE_PGM_RSRC2:TGID_Z_EN: 0
; COMPUTE_PGM_RSRC2:TIDIG_COMP_CNT: 2
	.section	.text._Z21sort_key_value_kernelILj64ELj1ELb0ELb0EjiEvPT3_PT4_jj,"axG",@progbits,_Z21sort_key_value_kernelILj64ELj1ELb0ELb0EjiEvPT3_PT4_jj,comdat
	.protected	_Z21sort_key_value_kernelILj64ELj1ELb0ELb0EjiEvPT3_PT4_jj ; -- Begin function _Z21sort_key_value_kernelILj64ELj1ELb0ELb0EjiEvPT3_PT4_jj
	.globl	_Z21sort_key_value_kernelILj64ELj1ELb0ELb0EjiEvPT3_PT4_jj
	.p2align	8
	.type	_Z21sort_key_value_kernelILj64ELj1ELb0ELb0EjiEvPT3_PT4_jj,@function
_Z21sort_key_value_kernelILj64ELj1ELb0ELb0EjiEvPT3_PT4_jj: ; @_Z21sort_key_value_kernelILj64ELj1ELb0ELb0EjiEvPT3_PT4_jj
; %bb.0:
	s_clause 0x1
	s_load_b128 s[4:7], s[0:1], 0x0
	s_load_b64 s[16:17], s[0:1], 0x10
	v_and_b32_e32 v1, 0x3ff, v0
	s_lshl_b32 s18, s15, 6
	s_mov_b32 s19, 0
	v_bfe_u32 v2, v0, 10, 10
	s_lshl_b64 s[2:3], s[18:19], 2
	v_lshlrev_b32_e32 v22, 2, v1
	v_bfe_u32 v0, v0, 20, 10
	v_mbcnt_lo_u32_b32 v4, -1, 0
	s_delay_alu instid0(VALU_DEP_1) | instskip(NEXT) | instid1(VALU_DEP_1)
	v_add_nc_u32_e32 v5, -1, v4
	v_cmp_gt_i32_e32 vcc_lo, 0, v5
	s_waitcnt lgkmcnt(0)
	s_add_u32 s12, s4, s2
	s_addc_u32 s13, s5, s3
	s_add_u32 s14, s6, s2
	s_addc_u32 s15, s7, s3
	s_clause 0x1
	global_load_b32 v21, v22, s[12:13]
	global_load_b32 v20, v22, s[14:15]
	s_load_b32 s0, s[0:1], 0x24
	s_cmp_eq_u32 s16, 0
	v_lshlrev_b32_e32 v13, 5, v1
	s_cselect_b32 s1, -1, 0
	s_cmp_eq_u32 s17, 32
	s_cselect_b32 s2, -1, 0
	s_delay_alu instid0(SALU_CYCLE_1)
	s_and_b32 s11, s1, s2
	v_cmp_lt_u32_e64 s2, 31, v1
	v_cmp_eq_u32_e64 s1, 0, v1
	s_waitcnt lgkmcnt(0)
	s_lshr_b32 s3, s0, 16
	s_and_b32 s0, s0, 0xffff
	v_mad_u32_u24 v0, v0, s3, v2
	v_cmp_gt_u32_e64 s3, 2, v1
	s_delay_alu instid0(VALU_DEP_2) | instskip(SKIP_3) | instid1(VALU_DEP_3)
	v_mad_u64_u32 v[2:3], null, v0, s0, v[1:2]
	v_and_b32_e32 v0, 15, v4
	v_and_b32_e32 v3, 16, v4
	v_cmp_eq_u32_e64 s0, 0, v4
	v_cmp_eq_u32_e64 s4, 0, v0
	v_lshrrev_b32_e32 v18, 5, v2
	v_and_b32_e32 v2, 32, v1
	v_cmp_lt_u32_e64 s5, 1, v0
	v_cmp_lt_u32_e64 s10, 3, v0
	;; [unrolled: 1-line block ×3, first 2 shown]
	v_cndmask_b32_e32 v0, v5, v4, vcc_lo
	v_or_b32_e32 v6, 31, v2
	v_cmp_eq_u32_e64 s7, 0, v3
	v_lshrrev_b32_e32 v3, 3, v1
	v_or_b32_e32 v2, v4, v2
	v_lshlrev_b32_e32 v15, 2, v0
	v_cmp_eq_u32_e64 s8, v6, v1
	v_and_b32_e32 v0, 1, v4
	v_and_b32_e32 v17, 4, v3
	v_mul_i32_i24_e32 v1, 0xffffffe4, v1
	v_or_b32_e32 v12, 8, v13
	v_lshlrev_b32_e32 v19, 2, v2
	v_cmp_eq_u32_e64 s6, 0, v0
	v_add_nc_u32_e32 v16, -4, v17
	v_add_nc_u32_e32 v14, v13, v1
	s_and_b32 vcc_lo, exec_lo, s11
	s_mov_b32 s11, -1
	s_cbranch_vccnz .LBB53_14
; %bb.1:
	s_mov_b32 s18, s19
	s_mov_b32 s20, s19
	;; [unrolled: 1-line block ×3, first 2 shown]
	v_dual_mov_b32 v8, s18 :: v_dual_mov_b32 v9, s19
	v_dual_mov_b32 v10, s20 :: v_dual_mov_b32 v11, s21
	s_waitcnt vmcnt(0)
	v_mov_b32_e32 v0, v20
	v_mov_b32_e32 v2, v21
	s_sub_i32 s18, s17, s16
	s_branch .LBB53_3
.LBB53_2:                               ;   in Loop: Header=BB53_3 Depth=1
	s_barrier
	buffer_gl0_inv
	ds_store_b32 v1, v23
	s_waitcnt lgkmcnt(0)
	s_barrier
	buffer_gl0_inv
	ds_load_b32 v2, v19
	s_waitcnt lgkmcnt(0)
	s_barrier
	buffer_gl0_inv
	ds_store_b32 v1, v24
	s_waitcnt lgkmcnt(0)
	s_barrier
	buffer_gl0_inv
	ds_load_b32 v0, v19
	s_add_i32 s18, s18, -8
	s_waitcnt lgkmcnt(0)
	s_barrier
	buffer_gl0_inv
	s_cbranch_execz .LBB53_13
.LBB53_3:                               ; =>This Inner Loop Header: Depth=1
	s_delay_alu instid0(VALU_DEP_1)
	v_mov_b32_e32 v23, v2
	s_min_u32 s11, s18, 8
	ds_store_2addr_b64 v13, v[8:9], v[10:11] offset0:1 offset1:2
	ds_store_2addr_b64 v12, v[8:9], v[10:11] offset0:2 offset1:3
	s_waitcnt lgkmcnt(0)
	s_barrier
	v_lshrrev_b32_e32 v1, s16, v23
	buffer_gl0_inv
	; wave barrier
	v_bfe_u32 v2, v1, 0, s11
	s_delay_alu instid0(VALU_DEP_1)
	v_lshlrev_b32_e32 v4, 29, v2
	v_and_b32_e32 v1, 1, v2
	v_lshlrev_b32_e32 v3, 30, v2
	v_lshlrev_b32_e32 v5, 28, v2
	v_lshlrev_b32_e32 v7, 27, v2
	v_lshlrev_b32_e32 v24, 26, v2
	v_add_co_u32 v1, s11, v1, -1
	s_delay_alu instid0(VALU_DEP_1)
	v_cndmask_b32_e64 v6, 0, 1, s11
	v_not_b32_e32 v26, v3
	v_cmp_gt_i32_e64 s11, 0, v3
	v_not_b32_e32 v3, v4
	v_lshlrev_b32_e32 v25, 25, v2
	v_cmp_ne_u32_e32 vcc_lo, 0, v6
	v_ashrrev_i32_e32 v26, 31, v26
	v_lshlrev_b32_e32 v6, 24, v2
	v_ashrrev_i32_e32 v3, 31, v3
	v_xor_b32_e32 v1, vcc_lo, v1
	v_cmp_gt_i32_e32 vcc_lo, 0, v4
	v_not_b32_e32 v4, v5
	v_xor_b32_e32 v26, s11, v26
	v_cmp_gt_i32_e64 s11, 0, v5
	v_and_b32_e32 v1, exec_lo, v1
	v_not_b32_e32 v5, v7
	v_ashrrev_i32_e32 v4, 31, v4
	v_xor_b32_e32 v3, vcc_lo, v3
	v_cmp_gt_i32_e32 vcc_lo, 0, v7
	v_and_b32_e32 v1, v1, v26
	v_not_b32_e32 v7, v24
	v_ashrrev_i32_e32 v5, 31, v5
	v_xor_b32_e32 v4, s11, v4
	v_cmp_gt_i32_e64 s11, 0, v24
	v_dual_mov_b32 v24, v0 :: v_dual_and_b32 v1, v1, v3
	v_not_b32_e32 v3, v25
	v_ashrrev_i32_e32 v7, 31, v7
	v_xor_b32_e32 v5, vcc_lo, v5
	v_cmp_gt_i32_e32 vcc_lo, 0, v25
	v_and_b32_e32 v1, v1, v4
	v_not_b32_e32 v4, v6
	v_ashrrev_i32_e32 v3, 31, v3
	v_xor_b32_e32 v7, s11, v7
	v_cmp_gt_i32_e64 s11, 0, v6
	v_and_b32_e32 v1, v1, v5
	v_ashrrev_i32_e32 v4, 31, v4
	v_xor_b32_e32 v3, vcc_lo, v3
	v_lshl_add_u32 v0, v2, 1, v18
	s_delay_alu instid0(VALU_DEP_4) | instskip(NEXT) | instid1(VALU_DEP_4)
	v_and_b32_e32 v1, v1, v7
	v_xor_b32_e32 v4, s11, v4
	s_delay_alu instid0(VALU_DEP_3) | instskip(NEXT) | instid1(VALU_DEP_3)
	v_lshl_add_u32 v26, v0, 2, 8
	v_and_b32_e32 v1, v1, v3
	s_delay_alu instid0(VALU_DEP_1) | instskip(NEXT) | instid1(VALU_DEP_1)
	v_and_b32_e32 v1, v1, v4
	v_mbcnt_lo_u32_b32 v25, v1, 0
	v_cmp_ne_u32_e64 s11, 0, v1
	s_delay_alu instid0(VALU_DEP_2) | instskip(NEXT) | instid1(VALU_DEP_2)
	v_cmp_eq_u32_e32 vcc_lo, 0, v25
	s_and_b32 s19, s11, vcc_lo
	s_delay_alu instid0(SALU_CYCLE_1)
	s_and_saveexec_b32 s11, s19
	s_cbranch_execz .LBB53_5
; %bb.4:                                ;   in Loop: Header=BB53_3 Depth=1
	v_bcnt_u32_b32 v0, v1, 0
	ds_store_b32 v26, v0
.LBB53_5:                               ;   in Loop: Header=BB53_3 Depth=1
	s_or_b32 exec_lo, exec_lo, s11
	; wave barrier
	s_waitcnt lgkmcnt(0)
	s_barrier
	buffer_gl0_inv
	ds_load_2addr_b64 v[4:7], v13 offset0:1 offset1:2
	ds_load_2addr_b64 v[0:3], v12 offset0:2 offset1:3
	s_waitcnt lgkmcnt(1)
	v_add_nc_u32_e32 v27, v5, v4
	s_delay_alu instid0(VALU_DEP_1) | instskip(SKIP_1) | instid1(VALU_DEP_1)
	v_add3_u32 v27, v27, v6, v7
	s_waitcnt lgkmcnt(0)
	v_add3_u32 v27, v27, v0, v1
	s_delay_alu instid0(VALU_DEP_1) | instskip(NEXT) | instid1(VALU_DEP_1)
	v_add3_u32 v3, v27, v2, v3
	v_mov_b32_dpp v27, v3 row_shr:1 row_mask:0xf bank_mask:0xf
	s_delay_alu instid0(VALU_DEP_1) | instskip(NEXT) | instid1(VALU_DEP_1)
	v_cndmask_b32_e64 v27, v27, 0, s4
	v_add_nc_u32_e32 v3, v27, v3
	s_delay_alu instid0(VALU_DEP_1) | instskip(NEXT) | instid1(VALU_DEP_1)
	v_mov_b32_dpp v27, v3 row_shr:2 row_mask:0xf bank_mask:0xf
	v_cndmask_b32_e64 v27, 0, v27, s5
	s_delay_alu instid0(VALU_DEP_1) | instskip(NEXT) | instid1(VALU_DEP_1)
	v_add_nc_u32_e32 v3, v3, v27
	v_mov_b32_dpp v27, v3 row_shr:4 row_mask:0xf bank_mask:0xf
	s_delay_alu instid0(VALU_DEP_1) | instskip(NEXT) | instid1(VALU_DEP_1)
	v_cndmask_b32_e64 v27, 0, v27, s10
	v_add_nc_u32_e32 v3, v3, v27
	s_delay_alu instid0(VALU_DEP_1) | instskip(NEXT) | instid1(VALU_DEP_1)
	v_mov_b32_dpp v27, v3 row_shr:8 row_mask:0xf bank_mask:0xf
	v_cndmask_b32_e64 v27, 0, v27, s9
	s_delay_alu instid0(VALU_DEP_1) | instskip(SKIP_3) | instid1(VALU_DEP_1)
	v_add_nc_u32_e32 v3, v3, v27
	ds_swizzle_b32 v27, v3 offset:swizzle(BROADCAST,32,15)
	s_waitcnt lgkmcnt(0)
	v_cndmask_b32_e64 v27, v27, 0, s7
	v_add_nc_u32_e32 v3, v3, v27
	s_and_saveexec_b32 s11, s8
	s_cbranch_execz .LBB53_7
; %bb.6:                                ;   in Loop: Header=BB53_3 Depth=1
	ds_store_b32 v17, v3
.LBB53_7:                               ;   in Loop: Header=BB53_3 Depth=1
	s_or_b32 exec_lo, exec_lo, s11
	s_waitcnt lgkmcnt(0)
	s_barrier
	buffer_gl0_inv
	s_and_saveexec_b32 s11, s3
	s_cbranch_execz .LBB53_9
; %bb.8:                                ;   in Loop: Header=BB53_3 Depth=1
	ds_load_b32 v27, v14
	s_waitcnt lgkmcnt(0)
	v_mov_b32_dpp v28, v27 row_shr:1 row_mask:0xf bank_mask:0xf
	s_delay_alu instid0(VALU_DEP_1) | instskip(NEXT) | instid1(VALU_DEP_1)
	v_cndmask_b32_e64 v28, v28, 0, s6
	v_add_nc_u32_e32 v27, v28, v27
	ds_store_b32 v14, v27
.LBB53_9:                               ;   in Loop: Header=BB53_3 Depth=1
	s_or_b32 exec_lo, exec_lo, s11
	v_mov_b32_e32 v27, 0
	s_waitcnt lgkmcnt(0)
	s_barrier
	buffer_gl0_inv
	s_and_saveexec_b32 s11, s2
	s_cbranch_execz .LBB53_11
; %bb.10:                               ;   in Loop: Header=BB53_3 Depth=1
	ds_load_b32 v27, v16
.LBB53_11:                              ;   in Loop: Header=BB53_3 Depth=1
	s_or_b32 exec_lo, exec_lo, s11
	s_waitcnt lgkmcnt(0)
	v_add_nc_u32_e32 v3, v27, v3
	s_add_i32 s16, s16, 8
	s_delay_alu instid0(SALU_CYCLE_1) | instskip(SKIP_3) | instid1(VALU_DEP_1)
	s_cmp_ge_u32 s16, s17
	ds_bpermute_b32 v3, v15, v3
	s_waitcnt lgkmcnt(0)
	v_cndmask_b32_e64 v3, v3, v27, s0
	v_cndmask_b32_e64 v3, v3, 0, s1
	s_delay_alu instid0(VALU_DEP_1) | instskip(NEXT) | instid1(VALU_DEP_1)
	v_add_nc_u32_e32 v4, v3, v4
	v_add_nc_u32_e32 v5, v4, v5
	s_delay_alu instid0(VALU_DEP_1) | instskip(NEXT) | instid1(VALU_DEP_1)
	v_add_nc_u32_e32 v6, v5, v6
	v_add_nc_u32_e32 v27, v6, v7
	;; [unrolled: 3-line block ×3, first 2 shown]
	s_delay_alu instid0(VALU_DEP_1)
	v_add_nc_u32_e32 v1, v0, v2
	ds_store_2addr_b64 v13, v[3:4], v[5:6] offset0:1 offset1:2
	ds_store_2addr_b64 v12, v[27:28], v[0:1] offset0:2 offset1:3
	s_waitcnt lgkmcnt(0)
	s_barrier
	buffer_gl0_inv
	ds_load_b32 v0, v26
	v_lshlrev_b32_e32 v1, 2, v25
	s_waitcnt lgkmcnt(0)
	s_delay_alu instid0(VALU_DEP_1)
	v_lshl_add_u32 v1, v0, 2, v1
	s_cbranch_scc0 .LBB53_2
; %bb.12:
                                        ; implicit-def: $vgpr2
                                        ; implicit-def: $vgpr0
                                        ; implicit-def: $sgpr18
.LBB53_13:
	s_barrier
	buffer_gl0_inv
	ds_store_b32 v1, v23
	s_waitcnt lgkmcnt(0)
	s_barrier
	buffer_gl0_inv
	ds_load_b32 v0, v14
	s_mov_b32 s11, 0
	s_waitcnt lgkmcnt(0)
	s_barrier
	buffer_gl0_inv
	ds_store_b32 v1, v24
	s_waitcnt lgkmcnt(0)
	s_barrier
	s_branch .LBB53_15
.LBB53_14:
                                        ; implicit-def: $vgpr0
.LBB53_15:
	v_add_co_u32 v8, s12, s12, v22
	s_delay_alu instid0(VALU_DEP_1) | instskip(SKIP_1) | instid1(VALU_DEP_1)
	v_add_co_ci_u32_e64 v9, null, s13, 0, s12
	v_add_co_u32 v10, s12, s14, v22
	v_add_co_ci_u32_e64 v11, null, s15, 0, s12
	s_and_b32 vcc_lo, exec_lo, s11
	s_cbranch_vccz .LBB53_49
; %bb.16:
	s_waitcnt vmcnt(1)
	v_and_b32_e32 v0, 1, v21
	v_lshlrev_b32_e32 v1, 30, v21
	v_lshlrev_b32_e32 v2, 29, v21
	;; [unrolled: 1-line block ×4, first 2 shown]
	v_add_co_u32 v0, s11, v0, -1
	s_delay_alu instid0(VALU_DEP_1)
	v_cndmask_b32_e64 v3, 0, 1, s11
	v_not_b32_e32 v7, v1
	v_cmp_gt_i32_e64 s11, 0, v1
	v_not_b32_e32 v1, v2
	v_lshlrev_b32_e32 v6, 26, v21
	v_cmp_ne_u32_e32 vcc_lo, 0, v3
	v_ashrrev_i32_e32 v7, 31, v7
	v_lshlrev_b32_e32 v3, 25, v21
	v_ashrrev_i32_e32 v1, 31, v1
	v_cmp_gt_i32_e64 s12, 0, v5
	v_xor_b32_e32 v0, vcc_lo, v0
	v_cmp_gt_i32_e32 vcc_lo, 0, v2
	v_not_b32_e32 v2, v4
	v_xor_b32_e32 v7, s11, v7
	v_cmp_gt_i32_e64 s11, 0, v4
	v_and_b32_e32 v0, exec_lo, v0
	v_xor_b32_e32 v1, vcc_lo, v1
	v_ashrrev_i32_e32 v2, 31, v2
	v_not_b32_e32 v4, v5
	v_not_b32_e32 v5, v6
	v_and_b32_e32 v0, v0, v7
	v_cmp_gt_i32_e32 vcc_lo, 0, v6
	v_xor_b32_e32 v2, s11, v2
	v_not_b32_e32 v6, v3
	s_delay_alu instid0(VALU_DEP_4) | instskip(SKIP_3) | instid1(VALU_DEP_4)
	v_and_b32_e32 v0, v0, v1
	v_ashrrev_i32_e32 v1, 31, v4
	v_ashrrev_i32_e32 v4, 31, v5
	v_lshlrev_b32_e32 v5, 24, v21
	v_and_b32_e32 v0, v0, v2
	s_delay_alu instid0(VALU_DEP_4) | instskip(NEXT) | instid1(VALU_DEP_4)
	v_xor_b32_e32 v1, s12, v1
	v_xor_b32_e32 v2, vcc_lo, v4
	v_cmp_gt_i32_e32 vcc_lo, 0, v3
	v_not_b32_e32 v3, v5
	v_ashrrev_i32_e32 v4, 31, v6
	v_and_b32_e32 v0, v0, v1
	v_cmp_gt_i32_e64 s11, 0, v5
	v_and_b32_e32 v5, 0xff, v21
	v_ashrrev_i32_e32 v1, 31, v3
	v_xor_b32_e32 v3, vcc_lo, v4
	v_and_b32_e32 v0, v0, v2
	s_mov_b32 s12, 0
	v_lshlrev_b32_e32 v5, 1, v5
	v_xor_b32_e32 v1, s11, v1
	s_mov_b32 s14, s12
	v_and_b32_e32 v0, v0, v3
	s_mov_b32 s13, s12
	s_mov_b32 s15, s12
	s_delay_alu instid0(SALU_CYCLE_1) | instskip(NEXT) | instid1(VALU_DEP_2)
	v_dual_mov_b32 v3, s14 :: v_dual_mov_b32 v4, s15
	v_dual_mov_b32 v1, s12 :: v_dual_and_b32 v0, v0, v1
	v_mov_b32_e32 v2, s13
	v_add_lshl_u32 v23, v5, v18, 2
	ds_store_2addr_b64 v13, v[1:2], v[3:4] offset0:1 offset1:2
	ds_store_2addr_b64 v12, v[1:2], v[3:4] offset0:2 offset1:3
	v_mbcnt_lo_u32_b32 v22, v0, 0
	v_cmp_ne_u32_e64 s11, 0, v0
	s_waitcnt vmcnt(0) lgkmcnt(0)
	s_barrier
	buffer_gl0_inv
	v_cmp_eq_u32_e32 vcc_lo, 0, v22
	; wave barrier
	s_and_b32 s12, s11, vcc_lo
	s_delay_alu instid0(SALU_CYCLE_1)
	s_and_saveexec_b32 s11, s12
	s_cbranch_execz .LBB53_18
; %bb.17:
	v_bcnt_u32_b32 v0, v0, 0
	ds_store_b32 v23, v0 offset:8
.LBB53_18:
	s_or_b32 exec_lo, exec_lo, s11
	; wave barrier
	s_waitcnt lgkmcnt(0)
	s_barrier
	buffer_gl0_inv
	ds_load_2addr_b64 v[4:7], v13 offset0:1 offset1:2
	ds_load_2addr_b64 v[0:3], v12 offset0:2 offset1:3
	s_waitcnt lgkmcnt(1)
	v_add_nc_u32_e32 v24, v5, v4
	s_delay_alu instid0(VALU_DEP_1) | instskip(SKIP_1) | instid1(VALU_DEP_1)
	v_add3_u32 v24, v24, v6, v7
	s_waitcnt lgkmcnt(0)
	v_add3_u32 v24, v24, v0, v1
	s_delay_alu instid0(VALU_DEP_1) | instskip(NEXT) | instid1(VALU_DEP_1)
	v_add3_u32 v3, v24, v2, v3
	v_mov_b32_dpp v24, v3 row_shr:1 row_mask:0xf bank_mask:0xf
	s_delay_alu instid0(VALU_DEP_1) | instskip(NEXT) | instid1(VALU_DEP_1)
	v_cndmask_b32_e64 v24, v24, 0, s4
	v_add_nc_u32_e32 v3, v24, v3
	s_delay_alu instid0(VALU_DEP_1) | instskip(NEXT) | instid1(VALU_DEP_1)
	v_mov_b32_dpp v24, v3 row_shr:2 row_mask:0xf bank_mask:0xf
	v_cndmask_b32_e64 v24, 0, v24, s5
	s_delay_alu instid0(VALU_DEP_1) | instskip(NEXT) | instid1(VALU_DEP_1)
	v_add_nc_u32_e32 v3, v3, v24
	v_mov_b32_dpp v24, v3 row_shr:4 row_mask:0xf bank_mask:0xf
	s_delay_alu instid0(VALU_DEP_1) | instskip(NEXT) | instid1(VALU_DEP_1)
	v_cndmask_b32_e64 v24, 0, v24, s10
	v_add_nc_u32_e32 v3, v3, v24
	s_delay_alu instid0(VALU_DEP_1) | instskip(NEXT) | instid1(VALU_DEP_1)
	v_mov_b32_dpp v24, v3 row_shr:8 row_mask:0xf bank_mask:0xf
	v_cndmask_b32_e64 v24, 0, v24, s9
	s_delay_alu instid0(VALU_DEP_1) | instskip(SKIP_3) | instid1(VALU_DEP_1)
	v_add_nc_u32_e32 v3, v3, v24
	ds_swizzle_b32 v24, v3 offset:swizzle(BROADCAST,32,15)
	s_waitcnt lgkmcnt(0)
	v_cndmask_b32_e64 v24, v24, 0, s7
	v_add_nc_u32_e32 v3, v3, v24
	s_and_saveexec_b32 s11, s8
	s_cbranch_execz .LBB53_20
; %bb.19:
	ds_store_b32 v17, v3
.LBB53_20:
	s_or_b32 exec_lo, exec_lo, s11
	s_waitcnt lgkmcnt(0)
	s_barrier
	buffer_gl0_inv
	s_and_saveexec_b32 s11, s3
	s_cbranch_execz .LBB53_22
; %bb.21:
	ds_load_b32 v24, v14
	s_waitcnt lgkmcnt(0)
	v_mov_b32_dpp v25, v24 row_shr:1 row_mask:0xf bank_mask:0xf
	s_delay_alu instid0(VALU_DEP_1) | instskip(NEXT) | instid1(VALU_DEP_1)
	v_cndmask_b32_e64 v25, v25, 0, s6
	v_add_nc_u32_e32 v24, v25, v24
	ds_store_b32 v14, v24
.LBB53_22:
	s_or_b32 exec_lo, exec_lo, s11
	v_mov_b32_e32 v24, 0
	s_waitcnt lgkmcnt(0)
	s_barrier
	buffer_gl0_inv
	s_and_saveexec_b32 s11, s2
	s_cbranch_execz .LBB53_24
; %bb.23:
	ds_load_b32 v24, v16
.LBB53_24:
	s_or_b32 exec_lo, exec_lo, s11
	s_mov_b32 s14, 0
	s_delay_alu instid0(SALU_CYCLE_1)
	s_mov_b32 s15, s14
	s_waitcnt lgkmcnt(0)
	v_add_nc_u32_e32 v3, v24, v3
	s_mov_b32 s12, s14
	s_mov_b32 s13, s14
	ds_bpermute_b32 v3, v15, v3
	s_waitcnt lgkmcnt(0)
	v_cndmask_b32_e64 v3, v3, v24, s0
	s_delay_alu instid0(VALU_DEP_1) | instskip(NEXT) | instid1(VALU_DEP_1)
	v_cndmask_b32_e64 v3, v3, 0, s1
	v_add_nc_u32_e32 v4, v3, v4
	s_delay_alu instid0(VALU_DEP_1) | instskip(NEXT) | instid1(VALU_DEP_1)
	v_add_nc_u32_e32 v5, v4, v5
	v_add_nc_u32_e32 v6, v5, v6
	s_delay_alu instid0(VALU_DEP_1) | instskip(NEXT) | instid1(VALU_DEP_1)
	v_add_nc_u32_e32 v24, v6, v7
	;; [unrolled: 3-line block ×3, first 2 shown]
	v_add_nc_u32_e32 v1, v0, v2
	ds_store_2addr_b64 v13, v[3:4], v[5:6] offset0:1 offset1:2
	ds_store_2addr_b64 v12, v[24:25], v[0:1] offset0:2 offset1:3
	s_waitcnt lgkmcnt(0)
	s_barrier
	buffer_gl0_inv
	ds_load_b32 v0, v23 offset:8
	v_lshlrev_b32_e32 v1, 2, v22
	s_waitcnt lgkmcnt(0)
	s_barrier
	buffer_gl0_inv
	v_lshl_add_u32 v0, v0, 2, v1
	v_dual_mov_b32 v1, s14 :: v_dual_mov_b32 v2, s15
	ds_store_b32 v0, v21
	s_waitcnt lgkmcnt(0)
	s_barrier
	buffer_gl0_inv
	ds_load_b32 v21, v19
	s_waitcnt lgkmcnt(0)
	s_barrier
	buffer_gl0_inv
	ds_store_b32 v0, v20
	s_waitcnt lgkmcnt(0)
	s_barrier
	buffer_gl0_inv
	v_bfe_u32 v3, v21, 8, 1
	v_lshrrev_b32_e32 v4, 8, v21
	s_delay_alu instid0(VALU_DEP_2) | instskip(NEXT) | instid1(VALU_DEP_1)
	v_add_co_u32 v3, s11, v3, -1
	v_cndmask_b32_e64 v5, 0, 1, s11
	s_delay_alu instid0(VALU_DEP_3)
	v_lshlrev_b32_e32 v6, 30, v4
	v_lshlrev_b32_e32 v7, 29, v4
	v_lshlrev_b32_e32 v22, 28, v4
	v_lshlrev_b32_e32 v23, 27, v4
	v_cmp_ne_u32_e32 vcc_lo, 0, v5
	v_not_b32_e32 v5, v6
	v_cmp_gt_i32_e64 s11, 0, v6
	v_not_b32_e32 v6, v7
	v_lshlrev_b32_e32 v24, 26, v4
	v_xor_b32_e32 v3, vcc_lo, v3
	v_ashrrev_i32_e32 v5, 31, v5
	v_cmp_gt_i32_e32 vcc_lo, 0, v7
	v_not_b32_e32 v7, v22
	v_ashrrev_i32_e32 v6, 31, v6
	v_and_b32_e32 v3, exec_lo, v3
	v_xor_b32_e32 v5, s11, v5
	v_cmp_gt_i32_e64 s11, 0, v22
	v_not_b32_e32 v22, v23
	v_ashrrev_i32_e32 v7, 31, v7
	v_xor_b32_e32 v6, vcc_lo, v6
	v_and_b32_e32 v3, v3, v5
	v_lshlrev_b32_e32 v25, 25, v4
	v_cmp_gt_i32_e32 vcc_lo, 0, v23
	v_not_b32_e32 v5, v24
	v_ashrrev_i32_e32 v22, 31, v22
	v_xor_b32_e32 v7, s11, v7
	v_and_b32_e32 v3, v3, v6
	v_lshlrev_b32_e32 v4, 24, v4
	v_cmp_gt_i32_e64 s11, 0, v24
	v_not_b32_e32 v6, v25
	v_ashrrev_i32_e32 v5, 31, v5
	v_xor_b32_e32 v22, vcc_lo, v22
	v_and_b32_e32 v3, v3, v7
	v_cmp_gt_i32_e32 vcc_lo, 0, v25
	v_not_b32_e32 v7, v4
	v_ashrrev_i32_e32 v6, 31, v6
	v_xor_b32_e32 v5, s11, v5
	v_and_b32_e32 v3, v3, v22
	v_cmp_gt_i32_e64 s11, 0, v4
	v_ashrrev_i32_e32 v4, 31, v7
	v_xor_b32_e32 v6, vcc_lo, v6
	ds_load_b32 v22, v19
	v_and_b32_e32 v3, v3, v5
	s_waitcnt lgkmcnt(0)
	v_xor_b32_e32 v0, s11, v4
	s_barrier
	buffer_gl0_inv
	v_and_b32_e32 v5, v3, v6
	v_dual_mov_b32 v3, s12 :: v_dual_mov_b32 v4, s13
	ds_store_2addr_b64 v13, v[1:2], v[3:4] offset0:1 offset1:2
	ds_store_2addr_b64 v12, v[1:2], v[3:4] offset0:2 offset1:3
	v_and_b32_e32 v0, v5, v0
	v_lshrrev_b32_e32 v5, 7, v21
	s_waitcnt lgkmcnt(0)
	s_barrier
	buffer_gl0_inv
	v_mbcnt_lo_u32_b32 v20, v0, 0
	v_and_b32_e32 v1, 0x1fe, v5
	v_cmp_ne_u32_e64 s11, 0, v0
	; wave barrier
	s_delay_alu instid0(VALU_DEP_3) | instskip(NEXT) | instid1(VALU_DEP_3)
	v_cmp_eq_u32_e32 vcc_lo, 0, v20
	v_add_lshl_u32 v23, v1, v18, 2
	s_delay_alu instid0(VALU_DEP_3) | instskip(NEXT) | instid1(SALU_CYCLE_1)
	s_and_b32 s12, s11, vcc_lo
	s_and_saveexec_b32 s11, s12
	s_cbranch_execz .LBB53_26
; %bb.25:
	v_bcnt_u32_b32 v0, v0, 0
	ds_store_b32 v23, v0 offset:8
.LBB53_26:
	s_or_b32 exec_lo, exec_lo, s11
	; wave barrier
	s_waitcnt lgkmcnt(0)
	s_barrier
	buffer_gl0_inv
	ds_load_2addr_b64 v[4:7], v13 offset0:1 offset1:2
	ds_load_2addr_b64 v[0:3], v12 offset0:2 offset1:3
	s_waitcnt lgkmcnt(1)
	v_add_nc_u32_e32 v24, v5, v4
	s_delay_alu instid0(VALU_DEP_1) | instskip(SKIP_1) | instid1(VALU_DEP_1)
	v_add3_u32 v24, v24, v6, v7
	s_waitcnt lgkmcnt(0)
	v_add3_u32 v24, v24, v0, v1
	s_delay_alu instid0(VALU_DEP_1) | instskip(NEXT) | instid1(VALU_DEP_1)
	v_add3_u32 v3, v24, v2, v3
	v_mov_b32_dpp v24, v3 row_shr:1 row_mask:0xf bank_mask:0xf
	s_delay_alu instid0(VALU_DEP_1) | instskip(NEXT) | instid1(VALU_DEP_1)
	v_cndmask_b32_e64 v24, v24, 0, s4
	v_add_nc_u32_e32 v3, v24, v3
	s_delay_alu instid0(VALU_DEP_1) | instskip(NEXT) | instid1(VALU_DEP_1)
	v_mov_b32_dpp v24, v3 row_shr:2 row_mask:0xf bank_mask:0xf
	v_cndmask_b32_e64 v24, 0, v24, s5
	s_delay_alu instid0(VALU_DEP_1) | instskip(NEXT) | instid1(VALU_DEP_1)
	v_add_nc_u32_e32 v3, v3, v24
	v_mov_b32_dpp v24, v3 row_shr:4 row_mask:0xf bank_mask:0xf
	s_delay_alu instid0(VALU_DEP_1) | instskip(NEXT) | instid1(VALU_DEP_1)
	v_cndmask_b32_e64 v24, 0, v24, s10
	v_add_nc_u32_e32 v3, v3, v24
	s_delay_alu instid0(VALU_DEP_1) | instskip(NEXT) | instid1(VALU_DEP_1)
	v_mov_b32_dpp v24, v3 row_shr:8 row_mask:0xf bank_mask:0xf
	v_cndmask_b32_e64 v24, 0, v24, s9
	s_delay_alu instid0(VALU_DEP_1) | instskip(SKIP_3) | instid1(VALU_DEP_1)
	v_add_nc_u32_e32 v3, v3, v24
	ds_swizzle_b32 v24, v3 offset:swizzle(BROADCAST,32,15)
	s_waitcnt lgkmcnt(0)
	v_cndmask_b32_e64 v24, v24, 0, s7
	v_add_nc_u32_e32 v3, v3, v24
	s_and_saveexec_b32 s11, s8
	s_cbranch_execz .LBB53_28
; %bb.27:
	ds_store_b32 v17, v3
.LBB53_28:
	s_or_b32 exec_lo, exec_lo, s11
	s_waitcnt lgkmcnt(0)
	s_barrier
	buffer_gl0_inv
	s_and_saveexec_b32 s11, s3
	s_cbranch_execz .LBB53_30
; %bb.29:
	ds_load_b32 v24, v14
	s_waitcnt lgkmcnt(0)
	v_mov_b32_dpp v25, v24 row_shr:1 row_mask:0xf bank_mask:0xf
	s_delay_alu instid0(VALU_DEP_1) | instskip(NEXT) | instid1(VALU_DEP_1)
	v_cndmask_b32_e64 v25, v25, 0, s6
	v_add_nc_u32_e32 v24, v25, v24
	ds_store_b32 v14, v24
.LBB53_30:
	s_or_b32 exec_lo, exec_lo, s11
	v_mov_b32_e32 v24, 0
	s_waitcnt lgkmcnt(0)
	s_barrier
	buffer_gl0_inv
	s_and_saveexec_b32 s11, s2
	s_cbranch_execz .LBB53_32
; %bb.31:
	ds_load_b32 v24, v16
.LBB53_32:
	s_or_b32 exec_lo, exec_lo, s11
	s_mov_b32 s15, s14
	s_waitcnt lgkmcnt(0)
	v_add_nc_u32_e32 v3, v24, v3
	s_mov_b32 s12, s14
	s_mov_b32 s13, s14
	ds_bpermute_b32 v3, v15, v3
	s_waitcnt lgkmcnt(0)
	v_cndmask_b32_e64 v3, v3, v24, s0
	s_delay_alu instid0(VALU_DEP_1) | instskip(NEXT) | instid1(VALU_DEP_1)
	v_cndmask_b32_e64 v3, v3, 0, s1
	v_add_nc_u32_e32 v4, v3, v4
	s_delay_alu instid0(VALU_DEP_1) | instskip(NEXT) | instid1(VALU_DEP_1)
	v_add_nc_u32_e32 v5, v4, v5
	v_add_nc_u32_e32 v6, v5, v6
	s_delay_alu instid0(VALU_DEP_1) | instskip(NEXT) | instid1(VALU_DEP_1)
	v_add_nc_u32_e32 v24, v6, v7
	;; [unrolled: 3-line block ×3, first 2 shown]
	v_add_nc_u32_e32 v1, v0, v2
	ds_store_2addr_b64 v13, v[3:4], v[5:6] offset0:1 offset1:2
	ds_store_2addr_b64 v12, v[24:25], v[0:1] offset0:2 offset1:3
	s_waitcnt lgkmcnt(0)
	s_barrier
	buffer_gl0_inv
	ds_load_b32 v0, v23 offset:8
	v_lshlrev_b32_e32 v1, 2, v20
	s_waitcnt lgkmcnt(0)
	s_barrier
	buffer_gl0_inv
	v_lshl_add_u32 v0, v0, 2, v1
	v_dual_mov_b32 v1, s14 :: v_dual_mov_b32 v2, s15
	ds_store_b32 v0, v21
	s_waitcnt lgkmcnt(0)
	s_barrier
	buffer_gl0_inv
	ds_load_b32 v20, v19
	s_waitcnt lgkmcnt(0)
	s_barrier
	buffer_gl0_inv
	ds_store_b32 v0, v22
	s_waitcnt lgkmcnt(0)
	s_barrier
	buffer_gl0_inv
	v_bfe_u32 v3, v20, 16, 1
	v_lshrrev_b32_e32 v4, 16, v20
	s_delay_alu instid0(VALU_DEP_2) | instskip(NEXT) | instid1(VALU_DEP_1)
	v_add_co_u32 v3, s11, v3, -1
	v_cndmask_b32_e64 v5, 0, 1, s11
	s_delay_alu instid0(VALU_DEP_3)
	v_lshlrev_b32_e32 v6, 30, v4
	v_lshlrev_b32_e32 v7, 29, v4
	;; [unrolled: 1-line block ×4, first 2 shown]
	v_cmp_ne_u32_e32 vcc_lo, 0, v5
	v_not_b32_e32 v5, v6
	v_cmp_gt_i32_e64 s11, 0, v6
	v_not_b32_e32 v6, v7
	v_lshlrev_b32_e32 v24, 26, v4
	v_xor_b32_e32 v3, vcc_lo, v3
	v_ashrrev_i32_e32 v5, 31, v5
	v_cmp_gt_i32_e32 vcc_lo, 0, v7
	v_not_b32_e32 v7, v21
	v_ashrrev_i32_e32 v6, 31, v6
	v_and_b32_e32 v3, exec_lo, v3
	v_xor_b32_e32 v5, s11, v5
	v_cmp_gt_i32_e64 s11, 0, v21
	v_not_b32_e32 v21, v23
	v_ashrrev_i32_e32 v7, 31, v7
	v_xor_b32_e32 v6, vcc_lo, v6
	v_and_b32_e32 v3, v3, v5
	v_lshlrev_b32_e32 v25, 25, v4
	v_cmp_gt_i32_e32 vcc_lo, 0, v23
	v_not_b32_e32 v5, v24
	v_ashrrev_i32_e32 v21, 31, v21
	v_xor_b32_e32 v7, s11, v7
	v_and_b32_e32 v3, v3, v6
	v_lshlrev_b32_e32 v4, 24, v4
	v_cmp_gt_i32_e64 s11, 0, v24
	v_not_b32_e32 v6, v25
	v_ashrrev_i32_e32 v5, 31, v5
	v_xor_b32_e32 v21, vcc_lo, v21
	v_and_b32_e32 v3, v3, v7
	v_cmp_gt_i32_e32 vcc_lo, 0, v25
	v_not_b32_e32 v7, v4
	v_ashrrev_i32_e32 v6, 31, v6
	v_xor_b32_e32 v5, s11, v5
	v_and_b32_e32 v3, v3, v21
	v_cmp_gt_i32_e64 s11, 0, v4
	v_ashrrev_i32_e32 v4, 31, v7
	v_xor_b32_e32 v6, vcc_lo, v6
	ds_load_b32 v21, v19
	v_and_b32_e32 v3, v3, v5
	s_waitcnt lgkmcnt(0)
	v_xor_b32_e32 v0, s11, v4
	s_barrier
	buffer_gl0_inv
	v_and_b32_e32 v5, v3, v6
	v_dual_mov_b32 v3, s12 :: v_dual_mov_b32 v4, s13
	ds_store_2addr_b64 v13, v[1:2], v[3:4] offset0:1 offset1:2
	ds_store_2addr_b64 v12, v[1:2], v[3:4] offset0:2 offset1:3
	v_and_b32_e32 v0, v5, v0
	v_lshrrev_b32_e32 v5, 15, v20
	s_waitcnt lgkmcnt(0)
	s_barrier
	buffer_gl0_inv
	v_mbcnt_lo_u32_b32 v22, v0, 0
	v_and_b32_e32 v1, 0x1fe, v5
	v_cmp_ne_u32_e64 s11, 0, v0
	; wave barrier
	s_delay_alu instid0(VALU_DEP_3) | instskip(NEXT) | instid1(VALU_DEP_3)
	v_cmp_eq_u32_e32 vcc_lo, 0, v22
	v_add_lshl_u32 v23, v1, v18, 2
	s_delay_alu instid0(VALU_DEP_3) | instskip(NEXT) | instid1(SALU_CYCLE_1)
	s_and_b32 s12, s11, vcc_lo
	s_and_saveexec_b32 s11, s12
	s_cbranch_execz .LBB53_34
; %bb.33:
	v_bcnt_u32_b32 v0, v0, 0
	ds_store_b32 v23, v0 offset:8
.LBB53_34:
	s_or_b32 exec_lo, exec_lo, s11
	; wave barrier
	s_waitcnt lgkmcnt(0)
	s_barrier
	buffer_gl0_inv
	ds_load_2addr_b64 v[4:7], v13 offset0:1 offset1:2
	ds_load_2addr_b64 v[0:3], v12 offset0:2 offset1:3
	s_waitcnt lgkmcnt(1)
	v_add_nc_u32_e32 v24, v5, v4
	s_delay_alu instid0(VALU_DEP_1) | instskip(SKIP_1) | instid1(VALU_DEP_1)
	v_add3_u32 v24, v24, v6, v7
	s_waitcnt lgkmcnt(0)
	v_add3_u32 v24, v24, v0, v1
	s_delay_alu instid0(VALU_DEP_1) | instskip(NEXT) | instid1(VALU_DEP_1)
	v_add3_u32 v3, v24, v2, v3
	v_mov_b32_dpp v24, v3 row_shr:1 row_mask:0xf bank_mask:0xf
	s_delay_alu instid0(VALU_DEP_1) | instskip(NEXT) | instid1(VALU_DEP_1)
	v_cndmask_b32_e64 v24, v24, 0, s4
	v_add_nc_u32_e32 v3, v24, v3
	s_delay_alu instid0(VALU_DEP_1) | instskip(NEXT) | instid1(VALU_DEP_1)
	v_mov_b32_dpp v24, v3 row_shr:2 row_mask:0xf bank_mask:0xf
	v_cndmask_b32_e64 v24, 0, v24, s5
	s_delay_alu instid0(VALU_DEP_1) | instskip(NEXT) | instid1(VALU_DEP_1)
	v_add_nc_u32_e32 v3, v3, v24
	v_mov_b32_dpp v24, v3 row_shr:4 row_mask:0xf bank_mask:0xf
	s_delay_alu instid0(VALU_DEP_1) | instskip(NEXT) | instid1(VALU_DEP_1)
	v_cndmask_b32_e64 v24, 0, v24, s10
	v_add_nc_u32_e32 v3, v3, v24
	s_delay_alu instid0(VALU_DEP_1) | instskip(NEXT) | instid1(VALU_DEP_1)
	v_mov_b32_dpp v24, v3 row_shr:8 row_mask:0xf bank_mask:0xf
	v_cndmask_b32_e64 v24, 0, v24, s9
	s_delay_alu instid0(VALU_DEP_1) | instskip(SKIP_3) | instid1(VALU_DEP_1)
	v_add_nc_u32_e32 v3, v3, v24
	ds_swizzle_b32 v24, v3 offset:swizzle(BROADCAST,32,15)
	s_waitcnt lgkmcnt(0)
	v_cndmask_b32_e64 v24, v24, 0, s7
	v_add_nc_u32_e32 v3, v3, v24
	s_and_saveexec_b32 s11, s8
	s_cbranch_execz .LBB53_36
; %bb.35:
	ds_store_b32 v17, v3
.LBB53_36:
	s_or_b32 exec_lo, exec_lo, s11
	s_waitcnt lgkmcnt(0)
	s_barrier
	buffer_gl0_inv
	s_and_saveexec_b32 s11, s3
	s_cbranch_execz .LBB53_38
; %bb.37:
	ds_load_b32 v24, v14
	s_waitcnt lgkmcnt(0)
	v_mov_b32_dpp v25, v24 row_shr:1 row_mask:0xf bank_mask:0xf
	s_delay_alu instid0(VALU_DEP_1) | instskip(NEXT) | instid1(VALU_DEP_1)
	v_cndmask_b32_e64 v25, v25, 0, s6
	v_add_nc_u32_e32 v24, v25, v24
	ds_store_b32 v14, v24
.LBB53_38:
	s_or_b32 exec_lo, exec_lo, s11
	v_mov_b32_e32 v24, 0
	s_waitcnt lgkmcnt(0)
	s_barrier
	buffer_gl0_inv
	s_and_saveexec_b32 s11, s2
	s_cbranch_execz .LBB53_40
; %bb.39:
	ds_load_b32 v24, v16
.LBB53_40:
	s_or_b32 exec_lo, exec_lo, s11
	s_mov_b32 s12, 0
	s_delay_alu instid0(SALU_CYCLE_1)
	s_mov_b32 s13, s12
	s_waitcnt lgkmcnt(0)
	v_add_nc_u32_e32 v3, v24, v3
	s_mov_b32 s14, s12
	s_mov_b32 s15, s12
	ds_bpermute_b32 v3, v15, v3
	s_waitcnt lgkmcnt(0)
	v_cndmask_b32_e64 v3, v3, v24, s0
	s_delay_alu instid0(VALU_DEP_1) | instskip(NEXT) | instid1(VALU_DEP_1)
	v_cndmask_b32_e64 v3, v3, 0, s1
	v_add_nc_u32_e32 v4, v3, v4
	s_delay_alu instid0(VALU_DEP_1) | instskip(NEXT) | instid1(VALU_DEP_1)
	v_add_nc_u32_e32 v5, v4, v5
	v_add_nc_u32_e32 v6, v5, v6
	s_delay_alu instid0(VALU_DEP_1) | instskip(NEXT) | instid1(VALU_DEP_1)
	v_add_nc_u32_e32 v24, v6, v7
	;; [unrolled: 3-line block ×3, first 2 shown]
	v_add_nc_u32_e32 v1, v0, v2
	ds_store_2addr_b64 v13, v[3:4], v[5:6] offset0:1 offset1:2
	ds_store_2addr_b64 v12, v[24:25], v[0:1] offset0:2 offset1:3
	s_waitcnt lgkmcnt(0)
	s_barrier
	buffer_gl0_inv
	ds_load_b32 v0, v23 offset:8
	v_lshlrev_b32_e32 v1, 2, v22
	s_waitcnt lgkmcnt(0)
	s_barrier
	buffer_gl0_inv
	v_lshl_add_u32 v0, v0, 2, v1
	ds_store_b32 v0, v20
	s_waitcnt lgkmcnt(0)
	s_barrier
	buffer_gl0_inv
	ds_load_b32 v20, v19
	s_waitcnt lgkmcnt(0)
	s_barrier
	buffer_gl0_inv
	ds_store_b32 v0, v21
	s_waitcnt lgkmcnt(0)
	s_barrier
	buffer_gl0_inv
	ds_load_b32 v19, v19
	s_waitcnt lgkmcnt(0)
	s_barrier
	buffer_gl0_inv
	v_bfe_u32 v1, v20, 24, 1
	v_lshrrev_b32_e32 v5, 24, v20
	s_delay_alu instid0(VALU_DEP_2) | instskip(NEXT) | instid1(VALU_DEP_1)
	v_add_co_u32 v1, s11, v1, -1
	v_cndmask_b32_e64 v2, 0, 1, s11
	s_delay_alu instid0(VALU_DEP_3)
	v_lshlrev_b32_e32 v3, 30, v5
	v_lshlrev_b32_e32 v4, 29, v5
	;; [unrolled: 1-line block ×4, first 2 shown]
	v_cmp_ne_u32_e32 vcc_lo, 0, v2
	v_not_b32_e32 v2, v3
	v_cmp_gt_i32_e64 s11, 0, v3
	v_not_b32_e32 v3, v4
	v_lshlrev_b32_e32 v22, 26, v5
	v_xor_b32_e32 v1, vcc_lo, v1
	v_ashrrev_i32_e32 v2, 31, v2
	v_cmp_gt_i32_e32 vcc_lo, 0, v4
	v_not_b32_e32 v4, v6
	v_ashrrev_i32_e32 v3, 31, v3
	v_and_b32_e32 v1, exec_lo, v1
	v_xor_b32_e32 v2, s11, v2
	v_cmp_gt_i32_e64 s11, 0, v6
	v_not_b32_e32 v6, v7
	v_ashrrev_i32_e32 v4, 31, v4
	v_xor_b32_e32 v3, vcc_lo, v3
	v_and_b32_e32 v1, v1, v2
	v_lshlrev_b32_e32 v23, 25, v5
	v_cmp_gt_i32_e32 vcc_lo, 0, v7
	v_not_b32_e32 v2, v22
	v_ashrrev_i32_e32 v6, 31, v6
	v_xor_b32_e32 v4, s11, v4
	v_and_b32_e32 v1, v1, v3
	v_cmp_gt_i32_e64 s11, 0, v22
	v_not_b32_e32 v3, v23
	v_ashrrev_i32_e32 v2, 31, v2
	v_xor_b32_e32 v6, vcc_lo, v6
	v_and_b32_e32 v1, v1, v4
	v_not_b32_e32 v4, v20
	v_cmp_gt_i32_e32 vcc_lo, 0, v23
	v_ashrrev_i32_e32 v3, 31, v3
	v_xor_b32_e32 v2, s11, v2
	v_and_b32_e32 v1, v1, v6
	v_cmp_gt_i32_e64 s11, 0, v20
	v_ashrrev_i32_e32 v4, 31, v4
	v_xor_b32_e32 v3, vcc_lo, v3
	s_delay_alu instid0(VALU_DEP_4) | instskip(NEXT) | instid1(VALU_DEP_3)
	v_and_b32_e32 v1, v1, v2
	v_xor_b32_e32 v0, s11, v4
	s_delay_alu instid0(VALU_DEP_2) | instskip(SKIP_1) | instid1(VALU_DEP_2)
	v_and_b32_e32 v3, v1, v3
	v_dual_mov_b32 v1, s12 :: v_dual_mov_b32 v2, s13
	v_dual_mov_b32 v3, s14 :: v_dual_and_b32 v0, v3, v0
	v_mov_b32_e32 v4, s15
	ds_store_2addr_b64 v13, v[1:2], v[3:4] offset0:1 offset1:2
	ds_store_2addr_b64 v12, v[1:2], v[3:4] offset0:2 offset1:3
	v_mbcnt_lo_u32_b32 v21, v0, 0
	v_lshlrev_b32_e32 v1, 1, v5
	v_cmp_ne_u32_e64 s11, 0, v0
	s_waitcnt lgkmcnt(0)
	s_barrier
	v_cmp_eq_u32_e32 vcc_lo, 0, v21
	v_add_lshl_u32 v18, v1, v18, 2
	buffer_gl0_inv
	; wave barrier
	s_and_b32 s12, s11, vcc_lo
	s_delay_alu instid0(SALU_CYCLE_1)
	s_and_saveexec_b32 s11, s12
	s_cbranch_execz .LBB53_42
; %bb.41:
	v_bcnt_u32_b32 v0, v0, 0
	ds_store_b32 v18, v0 offset:8
.LBB53_42:
	s_or_b32 exec_lo, exec_lo, s11
	; wave barrier
	s_waitcnt lgkmcnt(0)
	s_barrier
	buffer_gl0_inv
	ds_load_2addr_b64 v[4:7], v13 offset0:1 offset1:2
	ds_load_2addr_b64 v[0:3], v12 offset0:2 offset1:3
	s_waitcnt lgkmcnt(1)
	v_add_nc_u32_e32 v22, v5, v4
	s_delay_alu instid0(VALU_DEP_1) | instskip(SKIP_1) | instid1(VALU_DEP_1)
	v_add3_u32 v22, v22, v6, v7
	s_waitcnt lgkmcnt(0)
	v_add3_u32 v22, v22, v0, v1
	s_delay_alu instid0(VALU_DEP_1) | instskip(NEXT) | instid1(VALU_DEP_1)
	v_add3_u32 v3, v22, v2, v3
	v_mov_b32_dpp v22, v3 row_shr:1 row_mask:0xf bank_mask:0xf
	s_delay_alu instid0(VALU_DEP_1) | instskip(NEXT) | instid1(VALU_DEP_1)
	v_cndmask_b32_e64 v22, v22, 0, s4
	v_add_nc_u32_e32 v3, v22, v3
	s_delay_alu instid0(VALU_DEP_1) | instskip(NEXT) | instid1(VALU_DEP_1)
	v_mov_b32_dpp v22, v3 row_shr:2 row_mask:0xf bank_mask:0xf
	v_cndmask_b32_e64 v22, 0, v22, s5
	s_delay_alu instid0(VALU_DEP_1) | instskip(NEXT) | instid1(VALU_DEP_1)
	v_add_nc_u32_e32 v3, v3, v22
	v_mov_b32_dpp v22, v3 row_shr:4 row_mask:0xf bank_mask:0xf
	s_delay_alu instid0(VALU_DEP_1) | instskip(NEXT) | instid1(VALU_DEP_1)
	v_cndmask_b32_e64 v22, 0, v22, s10
	v_add_nc_u32_e32 v3, v3, v22
	s_delay_alu instid0(VALU_DEP_1) | instskip(NEXT) | instid1(VALU_DEP_1)
	v_mov_b32_dpp v22, v3 row_shr:8 row_mask:0xf bank_mask:0xf
	v_cndmask_b32_e64 v22, 0, v22, s9
	s_delay_alu instid0(VALU_DEP_1) | instskip(SKIP_3) | instid1(VALU_DEP_1)
	v_add_nc_u32_e32 v3, v3, v22
	ds_swizzle_b32 v22, v3 offset:swizzle(BROADCAST,32,15)
	s_waitcnt lgkmcnt(0)
	v_cndmask_b32_e64 v22, v22, 0, s7
	v_add_nc_u32_e32 v3, v3, v22
	s_and_saveexec_b32 s4, s8
	s_cbranch_execz .LBB53_44
; %bb.43:
	ds_store_b32 v17, v3
.LBB53_44:
	s_or_b32 exec_lo, exec_lo, s4
	s_waitcnt lgkmcnt(0)
	s_barrier
	buffer_gl0_inv
	s_and_saveexec_b32 s4, s3
	s_cbranch_execz .LBB53_46
; %bb.45:
	ds_load_b32 v17, v14
	s_waitcnt lgkmcnt(0)
	v_mov_b32_dpp v22, v17 row_shr:1 row_mask:0xf bank_mask:0xf
	s_delay_alu instid0(VALU_DEP_1) | instskip(NEXT) | instid1(VALU_DEP_1)
	v_cndmask_b32_e64 v22, v22, 0, s6
	v_add_nc_u32_e32 v17, v22, v17
	ds_store_b32 v14, v17
.LBB53_46:
	s_or_b32 exec_lo, exec_lo, s4
	v_mov_b32_e32 v17, 0
	s_waitcnt lgkmcnt(0)
	s_barrier
	buffer_gl0_inv
	s_and_saveexec_b32 s3, s2
	s_cbranch_execz .LBB53_48
; %bb.47:
	ds_load_b32 v17, v16
.LBB53_48:
	s_or_b32 exec_lo, exec_lo, s3
	s_waitcnt lgkmcnt(0)
	v_add_nc_u32_e32 v3, v17, v3
	ds_bpermute_b32 v3, v15, v3
	s_waitcnt lgkmcnt(0)
	v_cndmask_b32_e64 v3, v3, v17, s0
	s_delay_alu instid0(VALU_DEP_1) | instskip(NEXT) | instid1(VALU_DEP_1)
	v_cndmask_b32_e64 v3, v3, 0, s1
	v_add_nc_u32_e32 v4, v3, v4
	s_delay_alu instid0(VALU_DEP_1) | instskip(NEXT) | instid1(VALU_DEP_1)
	v_add_nc_u32_e32 v5, v4, v5
	v_add_nc_u32_e32 v6, v5, v6
	s_delay_alu instid0(VALU_DEP_1) | instskip(NEXT) | instid1(VALU_DEP_1)
	v_add_nc_u32_e32 v15, v6, v7
	;; [unrolled: 3-line block ×3, first 2 shown]
	v_add_nc_u32_e32 v1, v0, v2
	ds_store_2addr_b64 v13, v[3:4], v[5:6] offset0:1 offset1:2
	ds_store_2addr_b64 v12, v[15:16], v[0:1] offset0:2 offset1:3
	s_waitcnt lgkmcnt(0)
	s_barrier
	buffer_gl0_inv
	ds_load_b32 v0, v18 offset:8
	v_lshlrev_b32_e32 v1, 2, v21
	s_waitcnt lgkmcnt(0)
	s_barrier
	buffer_gl0_inv
	v_lshl_add_u32 v1, v0, 2, v1
	ds_store_b32 v1, v20
	s_waitcnt lgkmcnt(0)
	s_barrier
	buffer_gl0_inv
	ds_load_b32 v0, v14
	s_waitcnt lgkmcnt(0)
	s_barrier
	buffer_gl0_inv
	ds_store_b32 v1, v19
	s_waitcnt lgkmcnt(0)
	s_barrier
.LBB53_49:
	s_waitcnt vmcnt(0)
	buffer_gl0_inv
	ds_load_b32 v1, v14
	global_store_b32 v[8:9], v0, off
	s_waitcnt lgkmcnt(0)
	global_store_b32 v[10:11], v1, off
	s_nop 0
	s_sendmsg sendmsg(MSG_DEALLOC_VGPRS)
	s_endpgm
	.section	.rodata,"a",@progbits
	.p2align	6, 0x0
	.amdhsa_kernel _Z21sort_key_value_kernelILj64ELj1ELb0ELb0EjiEvPT3_PT4_jj
		.amdhsa_group_segment_fixed_size 2064
		.amdhsa_private_segment_fixed_size 0
		.amdhsa_kernarg_size 280
		.amdhsa_user_sgpr_count 15
		.amdhsa_user_sgpr_dispatch_ptr 0
		.amdhsa_user_sgpr_queue_ptr 0
		.amdhsa_user_sgpr_kernarg_segment_ptr 1
		.amdhsa_user_sgpr_dispatch_id 0
		.amdhsa_user_sgpr_private_segment_size 0
		.amdhsa_wavefront_size32 1
		.amdhsa_uses_dynamic_stack 0
		.amdhsa_enable_private_segment 0
		.amdhsa_system_sgpr_workgroup_id_x 1
		.amdhsa_system_sgpr_workgroup_id_y 0
		.amdhsa_system_sgpr_workgroup_id_z 0
		.amdhsa_system_sgpr_workgroup_info 0
		.amdhsa_system_vgpr_workitem_id 2
		.amdhsa_next_free_vgpr 29
		.amdhsa_next_free_sgpr 22
		.amdhsa_reserve_vcc 1
		.amdhsa_float_round_mode_32 0
		.amdhsa_float_round_mode_16_64 0
		.amdhsa_float_denorm_mode_32 3
		.amdhsa_float_denorm_mode_16_64 3
		.amdhsa_dx10_clamp 1
		.amdhsa_ieee_mode 1
		.amdhsa_fp16_overflow 0
		.amdhsa_workgroup_processor_mode 1
		.amdhsa_memory_ordered 1
		.amdhsa_forward_progress 0
		.amdhsa_shared_vgpr_count 0
		.amdhsa_exception_fp_ieee_invalid_op 0
		.amdhsa_exception_fp_denorm_src 0
		.amdhsa_exception_fp_ieee_div_zero 0
		.amdhsa_exception_fp_ieee_overflow 0
		.amdhsa_exception_fp_ieee_underflow 0
		.amdhsa_exception_fp_ieee_inexact 0
		.amdhsa_exception_int_div_zero 0
	.end_amdhsa_kernel
	.section	.text._Z21sort_key_value_kernelILj64ELj1ELb0ELb0EjiEvPT3_PT4_jj,"axG",@progbits,_Z21sort_key_value_kernelILj64ELj1ELb0ELb0EjiEvPT3_PT4_jj,comdat
.Lfunc_end53:
	.size	_Z21sort_key_value_kernelILj64ELj1ELb0ELb0EjiEvPT3_PT4_jj, .Lfunc_end53-_Z21sort_key_value_kernelILj64ELj1ELb0ELb0EjiEvPT3_PT4_jj
                                        ; -- End function
	.section	.AMDGPU.csdata,"",@progbits
; Kernel info:
; codeLenInByte = 5356
; NumSgprs: 24
; NumVgprs: 29
; ScratchSize: 0
; MemoryBound: 0
; FloatMode: 240
; IeeeMode: 1
; LDSByteSize: 2064 bytes/workgroup (compile time only)
; SGPRBlocks: 2
; VGPRBlocks: 3
; NumSGPRsForWavesPerEU: 24
; NumVGPRsForWavesPerEU: 29
; Occupancy: 16
; WaveLimiterHint : 0
; COMPUTE_PGM_RSRC2:SCRATCH_EN: 0
; COMPUTE_PGM_RSRC2:USER_SGPR: 15
; COMPUTE_PGM_RSRC2:TRAP_HANDLER: 0
; COMPUTE_PGM_RSRC2:TGID_X_EN: 1
; COMPUTE_PGM_RSRC2:TGID_Y_EN: 0
; COMPUTE_PGM_RSRC2:TGID_Z_EN: 0
; COMPUTE_PGM_RSRC2:TIDIG_COMP_CNT: 2
	.section	.text._Z21sort_key_value_kernelILj64ELj1ELb0ELb0EooEvPT3_PT4_jj,"axG",@progbits,_Z21sort_key_value_kernelILj64ELj1ELb0ELb0EooEvPT3_PT4_jj,comdat
	.protected	_Z21sort_key_value_kernelILj64ELj1ELb0ELb0EooEvPT3_PT4_jj ; -- Begin function _Z21sort_key_value_kernelILj64ELj1ELb0ELb0EooEvPT3_PT4_jj
	.globl	_Z21sort_key_value_kernelILj64ELj1ELb0ELb0EooEvPT3_PT4_jj
	.p2align	8
	.type	_Z21sort_key_value_kernelILj64ELj1ELb0ELb0EooEvPT3_PT4_jj,@function
_Z21sort_key_value_kernelILj64ELj1ELb0ELb0EooEvPT3_PT4_jj: ; @_Z21sort_key_value_kernelILj64ELj1ELb0ELb0EooEvPT3_PT4_jj
; %bb.0:
	s_clause 0x1
	s_load_b128 s[4:7], s[0:1], 0x0
	s_load_b64 s[16:17], s[0:1], 0x10
	v_mbcnt_lo_u32_b32 v11, -1, 0
	s_lshl_b32 s18, s15, 6
	s_mov_b32 s19, 0
	v_bfe_u32 v9, v0, 10, 10
	s_lshl_b64 s[2:3], s[18:19], 4
	v_add_nc_u32_e32 v12, -1, v11
	v_cmp_eq_u32_e64 s8, 0, v11
	s_delay_alu instid0(VALU_DEP_2) | instskip(SKIP_2) | instid1(VALU_DEP_2)
	v_cmp_gt_i32_e32 vcc_lo, 0, v12
	v_and_b32_e32 v25, 0x3ff, v0
	v_bfe_u32 v0, v0, 20, 10
	v_lshlrev_b32_e32 v30, 4, v25
	s_waitcnt lgkmcnt(0)
	s_add_u32 s12, s4, s2
	s_addc_u32 s13, s5, s3
	s_add_u32 s14, s6, s2
	s_addc_u32 s15, s7, s3
	s_clause 0x1
	global_load_b128 v[5:8], v30, s[12:13]
	global_load_b128 v[1:4], v30, s[14:15]
	s_load_b32 s0, s[0:1], 0x24
	s_cmp_eq_u32 s16, 0
	s_cselect_b32 s1, -1, 0
	s_cmpk_eq_i32 s17, 0x80
	s_cselect_b32 s2, -1, 0
	s_delay_alu instid0(SALU_CYCLE_1) | instskip(SKIP_4) | instid1(VALU_DEP_1)
	s_and_b32 s11, s1, s2
	s_waitcnt lgkmcnt(0)
	s_lshr_b32 s3, s0, 16
	s_and_b32 s0, s0, 0xffff
	v_mad_u32_u24 v0, v0, s3, v9
	v_mad_u64_u32 v[9:10], null, v0, s0, v[25:26]
	v_and_b32_e32 v0, 15, v11
	v_and_b32_e32 v10, 16, v11
	s_delay_alu instid0(VALU_DEP_2) | instskip(NEXT) | instid1(VALU_DEP_4)
	v_cmp_eq_u32_e64 s0, 0, v0
	v_lshrrev_b32_e32 v33, 5, v9
	v_cmp_lt_u32_e64 s1, 1, v0
	v_cmp_lt_u32_e64 s2, 3, v0
	;; [unrolled: 1-line block ×3, first 2 shown]
	v_dual_cndmask_b32 v0, v12, v11 :: v_dual_and_b32 v9, 32, v25
	v_cmp_eq_u32_e64 s4, 0, v10
	v_lshrrev_b32_e32 v10, 3, v25
	v_lshlrev_b32_e32 v31, 5, v25
	s_delay_alu instid0(VALU_DEP_4)
	v_lshlrev_b32_e32 v34, 2, v0
	v_or_b32_e32 v13, 31, v9
	v_and_b32_e32 v0, 1, v11
	v_and_b32_e32 v35, 4, v10
	v_or_b32_e32 v9, v11, v9
	v_mul_i32_i24_e32 v10, 0xffffffe4, v25
	v_or_b32_e32 v32, 8, v31
	v_cmp_eq_u32_e64 s5, v13, v25
	v_cmp_gt_u32_e64 s6, 2, v25
	v_cmp_lt_u32_e64 s7, 31, v25
	v_cmp_eq_u32_e64 s9, 0, v25
	v_cmp_eq_u32_e64 s10, 0, v0
	v_add_nc_u32_e32 v36, -4, v35
	v_lshlrev_b32_e32 v37, 4, v9
	v_add_nc_u32_e32 v38, v31, v10
	s_and_b32 vcc_lo, exec_lo, s11
	s_mov_b32 s11, -1
	s_cbranch_vccnz .LBB54_14
; %bb.1:
	s_mov_b32 s18, s19
	s_mov_b32 s20, s19
	;; [unrolled: 1-line block ×3, first 2 shown]
	v_dual_mov_b32 v27, s19 :: v_dual_mov_b32 v26, s18
	v_dual_mov_b32 v29, s21 :: v_dual_mov_b32 v28, s20
	s_waitcnt vmcnt(0)
	v_dual_mov_b32 v18, v2 :: v_dual_mov_b32 v17, v1
	v_dual_mov_b32 v20, v4 :: v_dual_mov_b32 v19, v3
	;; [unrolled: 1-line block ×4, first 2 shown]
	s_sub_i32 s18, s17, s16
	s_branch .LBB54_3
.LBB54_2:                               ;   in Loop: Header=BB54_3 Depth=1
	s_barrier
	buffer_gl0_inv
	ds_store_b128 v0, v[9:12]
	s_waitcnt lgkmcnt(0)
	s_barrier
	buffer_gl0_inv
	ds_load_b128 v[21:24], v37
	s_waitcnt lgkmcnt(0)
	s_barrier
	buffer_gl0_inv
	ds_store_b128 v0, v[13:16]
	s_waitcnt lgkmcnt(0)
	s_barrier
	buffer_gl0_inv
	ds_load_b128 v[17:20], v37
	s_add_i32 s18, s18, -8
	s_waitcnt lgkmcnt(0)
	s_barrier
	buffer_gl0_inv
	s_cbranch_execz .LBB54_13
.LBB54_3:                               ; =>This Inner Loop Header: Depth=1
	s_delay_alu instid0(VALU_DEP_2) | instskip(NEXT) | instid1(VALU_DEP_2)
	v_dual_mov_b32 v9, v21 :: v_dual_mov_b32 v10, v22
	v_dual_mov_b32 v11, v23 :: v_dual_mov_b32 v12, v24
	s_sub_i32 s11, 64, s16
	ds_store_2addr_b64 v31, v[26:27], v[28:29] offset0:1 offset1:2
	ds_store_2addr_b64 v32, v[26:27], v[28:29] offset0:2 offset1:3
	v_lshrrev_b64 v[13:14], s16, v[9:10]
	s_waitcnt lgkmcnt(0)
	v_lshlrev_b64 v[14:15], s11, v[11:12]
	s_sub_i32 s11, s16, 64
	s_barrier
	v_lshrrev_b64 v[15:16], s11, v[11:12]
	s_min_u32 s11, s18, 8
	s_cmp_lt_u32 s16, 64
	v_or_b32_e32 v0, v13, v14
	s_cselect_b32 vcc_lo, -1, 0
	s_cmp_eq_u32 s16, 0
	buffer_gl0_inv
	v_cndmask_b32_e32 v0, v15, v0, vcc_lo
	s_cselect_b32 vcc_lo, -1, 0
	; wave barrier
	s_delay_alu instid0(VALU_DEP_1) | instskip(NEXT) | instid1(VALU_DEP_1)
	v_cndmask_b32_e32 v0, v0, v9, vcc_lo
	v_bfe_u32 v22, v0, 0, s11
	s_delay_alu instid0(VALU_DEP_1)
	v_lshlrev_b32_e32 v15, 28, v22
	v_and_b32_e32 v0, 1, v22
	v_lshlrev_b32_e32 v13, 30, v22
	v_lshlrev_b32_e32 v14, 29, v22
	;; [unrolled: 1-line block ×4, first 2 shown]
	v_add_co_u32 v0, s11, v0, -1
	s_delay_alu instid0(VALU_DEP_1)
	v_cndmask_b32_e64 v16, 0, 1, s11
	v_not_b32_e32 v39, v13
	v_cmp_gt_i32_e64 s11, 0, v13
	v_not_b32_e32 v13, v14
	v_lshlrev_b32_e32 v24, 25, v22
	v_cmp_ne_u32_e32 vcc_lo, 0, v16
	v_ashrrev_i32_e32 v39, 31, v39
	v_lshlrev_b32_e32 v16, 24, v22
	v_ashrrev_i32_e32 v13, 31, v13
	v_xor_b32_e32 v0, vcc_lo, v0
	v_cmp_gt_i32_e32 vcc_lo, 0, v14
	v_not_b32_e32 v14, v15
	v_xor_b32_e32 v39, s11, v39
	v_cmp_gt_i32_e64 s11, 0, v15
	v_and_b32_e32 v0, exec_lo, v0
	v_not_b32_e32 v15, v21
	v_ashrrev_i32_e32 v14, 31, v14
	v_xor_b32_e32 v13, vcc_lo, v13
	v_cmp_gt_i32_e32 vcc_lo, 0, v21
	v_and_b32_e32 v0, v0, v39
	v_not_b32_e32 v21, v23
	v_ashrrev_i32_e32 v15, 31, v15
	v_xor_b32_e32 v14, s11, v14
	v_cmp_gt_i32_e64 s11, 0, v23
	v_and_b32_e32 v0, v0, v13
	v_not_b32_e32 v13, v24
	v_ashrrev_i32_e32 v21, 31, v21
	v_xor_b32_e32 v15, vcc_lo, v15
	v_cmp_gt_i32_e32 vcc_lo, 0, v24
	v_and_b32_e32 v0, v0, v14
	v_not_b32_e32 v14, v16
	v_ashrrev_i32_e32 v13, 31, v13
	v_xor_b32_e32 v21, s11, v21
	v_cmp_gt_i32_e64 s11, 0, v16
	v_and_b32_e32 v0, v0, v15
	v_ashrrev_i32_e32 v14, 31, v14
	v_xor_b32_e32 v13, vcc_lo, v13
	v_dual_mov_b32 v15, v19 :: v_dual_mov_b32 v16, v20
	s_delay_alu instid0(VALU_DEP_4) | instskip(NEXT) | instid1(VALU_DEP_4)
	v_and_b32_e32 v0, v0, v21
	v_xor_b32_e32 v14, s11, v14
	s_delay_alu instid0(VALU_DEP_2) | instskip(NEXT) | instid1(VALU_DEP_1)
	v_and_b32_e32 v0, v0, v13
	v_and_b32_e32 v21, v0, v14
	v_dual_mov_b32 v13, v17 :: v_dual_mov_b32 v14, v18
	v_lshl_add_u32 v17, v22, 1, v33
	s_delay_alu instid0(VALU_DEP_3) | instskip(SKIP_1) | instid1(VALU_DEP_3)
	v_mbcnt_lo_u32_b32 v0, v21, 0
	v_cmp_ne_u32_e64 s11, 0, v21
	v_lshl_add_u32 v39, v17, 2, 8
	s_delay_alu instid0(VALU_DEP_3) | instskip(NEXT) | instid1(VALU_DEP_3)
	v_cmp_eq_u32_e32 vcc_lo, 0, v0
	s_and_b32 s19, s11, vcc_lo
	s_delay_alu instid0(SALU_CYCLE_1)
	s_and_saveexec_b32 s11, s19
	s_cbranch_execz .LBB54_5
; %bb.4:                                ;   in Loop: Header=BB54_3 Depth=1
	v_bcnt_u32_b32 v17, v21, 0
	ds_store_b32 v39, v17
.LBB54_5:                               ;   in Loop: Header=BB54_3 Depth=1
	s_or_b32 exec_lo, exec_lo, s11
	; wave barrier
	s_waitcnt lgkmcnt(0)
	s_barrier
	buffer_gl0_inv
	ds_load_2addr_b64 v[21:24], v31 offset0:1 offset1:2
	ds_load_2addr_b64 v[17:20], v32 offset0:2 offset1:3
	s_waitcnt lgkmcnt(1)
	v_add_nc_u32_e32 v40, v22, v21
	s_delay_alu instid0(VALU_DEP_1) | instskip(SKIP_1) | instid1(VALU_DEP_1)
	v_add3_u32 v40, v40, v23, v24
	s_waitcnt lgkmcnt(0)
	v_add3_u32 v40, v40, v17, v18
	s_delay_alu instid0(VALU_DEP_1) | instskip(NEXT) | instid1(VALU_DEP_1)
	v_add3_u32 v20, v40, v19, v20
	v_mov_b32_dpp v40, v20 row_shr:1 row_mask:0xf bank_mask:0xf
	s_delay_alu instid0(VALU_DEP_1) | instskip(NEXT) | instid1(VALU_DEP_1)
	v_cndmask_b32_e64 v40, v40, 0, s0
	v_add_nc_u32_e32 v20, v40, v20
	s_delay_alu instid0(VALU_DEP_1) | instskip(NEXT) | instid1(VALU_DEP_1)
	v_mov_b32_dpp v40, v20 row_shr:2 row_mask:0xf bank_mask:0xf
	v_cndmask_b32_e64 v40, 0, v40, s1
	s_delay_alu instid0(VALU_DEP_1) | instskip(NEXT) | instid1(VALU_DEP_1)
	v_add_nc_u32_e32 v20, v20, v40
	v_mov_b32_dpp v40, v20 row_shr:4 row_mask:0xf bank_mask:0xf
	s_delay_alu instid0(VALU_DEP_1) | instskip(NEXT) | instid1(VALU_DEP_1)
	v_cndmask_b32_e64 v40, 0, v40, s2
	v_add_nc_u32_e32 v20, v20, v40
	s_delay_alu instid0(VALU_DEP_1) | instskip(NEXT) | instid1(VALU_DEP_1)
	v_mov_b32_dpp v40, v20 row_shr:8 row_mask:0xf bank_mask:0xf
	v_cndmask_b32_e64 v40, 0, v40, s3
	s_delay_alu instid0(VALU_DEP_1) | instskip(SKIP_3) | instid1(VALU_DEP_1)
	v_add_nc_u32_e32 v20, v20, v40
	ds_swizzle_b32 v40, v20 offset:swizzle(BROADCAST,32,15)
	s_waitcnt lgkmcnt(0)
	v_cndmask_b32_e64 v40, v40, 0, s4
	v_add_nc_u32_e32 v20, v20, v40
	s_and_saveexec_b32 s11, s5
	s_cbranch_execz .LBB54_7
; %bb.6:                                ;   in Loop: Header=BB54_3 Depth=1
	ds_store_b32 v35, v20
.LBB54_7:                               ;   in Loop: Header=BB54_3 Depth=1
	s_or_b32 exec_lo, exec_lo, s11
	s_waitcnt lgkmcnt(0)
	s_barrier
	buffer_gl0_inv
	s_and_saveexec_b32 s11, s6
	s_cbranch_execz .LBB54_9
; %bb.8:                                ;   in Loop: Header=BB54_3 Depth=1
	ds_load_b32 v40, v38
	s_waitcnt lgkmcnt(0)
	v_mov_b32_dpp v41, v40 row_shr:1 row_mask:0xf bank_mask:0xf
	s_delay_alu instid0(VALU_DEP_1) | instskip(NEXT) | instid1(VALU_DEP_1)
	v_cndmask_b32_e64 v41, v41, 0, s10
	v_add_nc_u32_e32 v40, v41, v40
	ds_store_b32 v38, v40
.LBB54_9:                               ;   in Loop: Header=BB54_3 Depth=1
	s_or_b32 exec_lo, exec_lo, s11
	v_mov_b32_e32 v40, 0
	s_waitcnt lgkmcnt(0)
	s_barrier
	buffer_gl0_inv
	s_and_saveexec_b32 s11, s7
	s_cbranch_execz .LBB54_11
; %bb.10:                               ;   in Loop: Header=BB54_3 Depth=1
	ds_load_b32 v40, v36
.LBB54_11:                              ;   in Loop: Header=BB54_3 Depth=1
	s_or_b32 exec_lo, exec_lo, s11
	s_waitcnt lgkmcnt(0)
	v_add_nc_u32_e32 v20, v40, v20
	v_lshlrev_b32_e32 v0, 4, v0
	s_add_i32 s16, s16, 8
	s_delay_alu instid0(SALU_CYCLE_1) | instskip(SKIP_3) | instid1(VALU_DEP_1)
	s_cmp_ge_u32 s16, s17
	ds_bpermute_b32 v20, v34, v20
	s_waitcnt lgkmcnt(0)
	v_cndmask_b32_e64 v20, v20, v40, s8
	v_cndmask_b32_e64 v20, v20, 0, s9
	s_delay_alu instid0(VALU_DEP_1) | instskip(NEXT) | instid1(VALU_DEP_1)
	v_add_nc_u32_e32 v21, v20, v21
	v_add_nc_u32_e32 v22, v21, v22
	s_delay_alu instid0(VALU_DEP_1) | instskip(NEXT) | instid1(VALU_DEP_1)
	v_add_nc_u32_e32 v23, v22, v23
	v_add_nc_u32_e32 v40, v23, v24
	;; [unrolled: 3-line block ×3, first 2 shown]
	s_delay_alu instid0(VALU_DEP_1)
	v_add_nc_u32_e32 v18, v17, v19
	ds_store_2addr_b64 v31, v[20:21], v[22:23] offset0:1 offset1:2
	ds_store_2addr_b64 v32, v[40:41], v[17:18] offset0:2 offset1:3
	s_waitcnt lgkmcnt(0)
	s_barrier
	buffer_gl0_inv
	ds_load_b32 v17, v39
	s_waitcnt lgkmcnt(0)
	v_lshl_add_u32 v0, v17, 4, v0
	s_cbranch_scc0 .LBB54_2
; %bb.12:
                                        ; implicit-def: $vgpr21_vgpr22
                                        ; implicit-def: $vgpr17_vgpr18
                                        ; implicit-def: $sgpr18
.LBB54_13:
	v_lshlrev_b32_e32 v21, 4, v25
	s_barrier
	buffer_gl0_inv
	ds_store_b128 v0, v[9:12]
	s_waitcnt lgkmcnt(0)
	s_barrier
	buffer_gl0_inv
	ds_load_b128 v[9:12], v21
	s_waitcnt lgkmcnt(0)
	s_barrier
	buffer_gl0_inv
	ds_store_b128 v0, v[13:16]
	s_waitcnt lgkmcnt(0)
	s_mov_b32 s11, 0
	s_barrier
	s_branch .LBB54_15
.LBB54_14:
                                        ; implicit-def: $vgpr21
                                        ; implicit-def: $vgpr9_vgpr10
.LBB54_15:
	v_add_co_u32 v17, s12, s12, v30
	s_delay_alu instid0(VALU_DEP_1) | instskip(SKIP_1) | instid1(VALU_DEP_1)
	v_add_co_ci_u32_e64 v18, null, s13, 0, s12
	v_add_co_u32 v19, s12, s14, v30
	v_add_co_ci_u32_e64 v20, null, s15, 0, s12
	s_and_b32 vcc_lo, exec_lo, s11
	s_cbranch_vccz .LBB54_29
; %bb.16:
	s_mov_b32 s12, 0
	s_delay_alu instid0(SALU_CYCLE_1)
	s_mov_b32 s13, s12
	s_mov_b32 s14, s12
	;; [unrolled: 1-line block ×3, first 2 shown]
	v_dual_mov_b32 v22, s13 :: v_dual_mov_b32 v21, s12
	v_dual_mov_b32 v24, s15 :: v_dual_mov_b32 v23, s14
	s_branch .LBB54_18
.LBB54_17:                              ;   in Loop: Header=BB54_18 Depth=1
	s_delay_alu instid0(VALU_DEP_1)
	v_lshlrev_b32_e32 v1, 4, v0
	s_barrier
	buffer_gl0_inv
	s_add_i32 s12, s12, 8
	ds_store_b128 v1, v[9:12]
	s_waitcnt lgkmcnt(0)
	s_barrier
	buffer_gl0_inv
	ds_load_b128 v[5:8], v37
	s_waitcnt lgkmcnt(0)
	s_barrier
	buffer_gl0_inv
	ds_store_b128 v1, v[13:16]
	s_waitcnt lgkmcnt(0)
	s_barrier
	buffer_gl0_inv
	ds_load_b128 v[1:4], v37
	s_waitcnt lgkmcnt(0)
	s_barrier
	buffer_gl0_inv
	s_cbranch_execz .LBB54_28
.LBB54_18:                              ; =>This Inner Loop Header: Depth=1
	s_waitcnt vmcnt(1)
	v_dual_mov_b32 v10, v6 :: v_dual_mov_b32 v9, v5
	v_dual_mov_b32 v12, v8 :: v_dual_mov_b32 v11, v7
	s_sub_i32 s11, 64, s12
	ds_store_2addr_b64 v31, v[21:22], v[23:24] offset0:1 offset1:2
	ds_store_2addr_b64 v32, v[21:22], v[23:24] offset0:2 offset1:3
	v_lshrrev_b64 v[5:6], s12, v[9:10]
	s_waitcnt vmcnt(0) lgkmcnt(0)
	v_lshlrev_b64 v[6:7], s11, v[11:12]
	s_sub_i32 s11, s12, 64
	s_cmp_lt_u32 s12, 64
	v_lshrrev_b64 v[7:8], s11, v[11:12]
	s_cselect_b32 vcc_lo, -1, 0
	s_cmp_eq_u32 s12, 0
	v_or_b32_e32 v0, v5, v6
	s_barrier
	buffer_gl0_inv
	; wave barrier
	v_cndmask_b32_e32 v0, v7, v0, vcc_lo
	s_cselect_b32 vcc_lo, -1, 0
	s_delay_alu instid0(VALU_DEP_1) | instskip(NEXT) | instid1(VALU_DEP_1)
	v_cndmask_b32_e32 v5, v0, v9, vcc_lo
	v_and_b32_e32 v0, 1, v5
	s_delay_alu instid0(VALU_DEP_1) | instskip(NEXT) | instid1(VALU_DEP_1)
	v_add_co_u32 v0, s11, v0, -1
	v_cndmask_b32_e64 v13, 0, 1, s11
	s_delay_alu instid0(VALU_DEP_1) | instskip(NEXT) | instid1(VALU_DEP_3)
	v_cmp_ne_u32_e32 vcc_lo, 0, v13
	v_xor_b32_e32 v0, vcc_lo, v0
	s_delay_alu instid0(VALU_DEP_1)
	v_and_b32_e32 v0, exec_lo, v0
	v_lshlrev_b32_e32 v6, 30, v5
	v_lshlrev_b32_e32 v7, 29, v5
	;; [unrolled: 1-line block ×5, first 2 shown]
	v_not_b32_e32 v25, v6
	v_cmp_gt_i32_e64 s11, 0, v6
	v_not_b32_e32 v6, v7
	v_cmp_gt_i32_e32 vcc_lo, 0, v7
	v_not_b32_e32 v7, v8
	v_ashrrev_i32_e32 v25, 31, v25
	v_lshlrev_b32_e32 v16, 25, v5
	v_ashrrev_i32_e32 v6, 31, v6
	v_lshlrev_b32_e32 v13, 24, v5
	v_ashrrev_i32_e32 v7, 31, v7
	v_xor_b32_e32 v25, s11, v25
	v_cmp_gt_i32_e64 s11, 0, v8
	v_not_b32_e32 v8, v14
	v_xor_b32_e32 v6, vcc_lo, v6
	v_cmp_gt_i32_e32 vcc_lo, 0, v14
	v_and_b32_e32 v0, v0, v25
	v_not_b32_e32 v14, v15
	v_ashrrev_i32_e32 v8, 31, v8
	v_xor_b32_e32 v7, s11, v7
	v_cmp_gt_i32_e64 s11, 0, v15
	v_and_b32_e32 v0, v0, v6
	v_not_b32_e32 v6, v16
	v_ashrrev_i32_e32 v14, 31, v14
	v_xor_b32_e32 v8, vcc_lo, v8
	v_cmp_gt_i32_e32 vcc_lo, 0, v16
	v_mov_b32_e32 v16, v4
	v_and_b32_e32 v0, v0, v7
	v_not_b32_e32 v7, v13
	v_ashrrev_i32_e32 v6, 31, v6
	v_xor_b32_e32 v14, s11, v14
	v_cmp_gt_i32_e64 s11, 0, v13
	v_and_b32_e32 v0, v0, v8
	v_ashrrev_i32_e32 v7, 31, v7
	v_xor_b32_e32 v6, vcc_lo, v6
	v_mov_b32_e32 v15, v3
	v_and_b32_e32 v3, 0xff, v5
	v_and_b32_e32 v0, v0, v14
	v_xor_b32_e32 v7, s11, v7
	v_dual_mov_b32 v14, v2 :: v_dual_mov_b32 v13, v1
	s_delay_alu instid0(VALU_DEP_4) | instskip(NEXT) | instid1(VALU_DEP_4)
	v_lshl_add_u32 v1, v3, 1, v33
	v_and_b32_e32 v0, v0, v6
	s_delay_alu instid0(VALU_DEP_2) | instskip(NEXT) | instid1(VALU_DEP_2)
	v_lshl_add_u32 v25, v1, 2, 8
	v_and_b32_e32 v0, v0, v7
	s_delay_alu instid0(VALU_DEP_1) | instskip(SKIP_1) | instid1(VALU_DEP_2)
	v_mbcnt_lo_u32_b32 v8, v0, 0
	v_cmp_ne_u32_e64 s11, 0, v0
	v_cmp_eq_u32_e32 vcc_lo, 0, v8
	s_delay_alu instid0(VALU_DEP_2) | instskip(NEXT) | instid1(SALU_CYCLE_1)
	s_and_b32 s13, s11, vcc_lo
	s_and_saveexec_b32 s11, s13
	s_cbranch_execz .LBB54_20
; %bb.19:                               ;   in Loop: Header=BB54_18 Depth=1
	v_bcnt_u32_b32 v0, v0, 0
	ds_store_b32 v25, v0
.LBB54_20:                              ;   in Loop: Header=BB54_18 Depth=1
	s_or_b32 exec_lo, exec_lo, s11
	; wave barrier
	s_waitcnt lgkmcnt(0)
	s_barrier
	buffer_gl0_inv
	ds_load_2addr_b64 v[4:7], v31 offset0:1 offset1:2
	ds_load_2addr_b64 v[0:3], v32 offset0:2 offset1:3
	s_waitcnt lgkmcnt(1)
	v_add_nc_u32_e32 v26, v5, v4
	s_delay_alu instid0(VALU_DEP_1) | instskip(SKIP_1) | instid1(VALU_DEP_1)
	v_add3_u32 v26, v26, v6, v7
	s_waitcnt lgkmcnt(0)
	v_add3_u32 v26, v26, v0, v1
	s_delay_alu instid0(VALU_DEP_1) | instskip(NEXT) | instid1(VALU_DEP_1)
	v_add3_u32 v3, v26, v2, v3
	v_mov_b32_dpp v26, v3 row_shr:1 row_mask:0xf bank_mask:0xf
	s_delay_alu instid0(VALU_DEP_1) | instskip(NEXT) | instid1(VALU_DEP_1)
	v_cndmask_b32_e64 v26, v26, 0, s0
	v_add_nc_u32_e32 v3, v26, v3
	s_delay_alu instid0(VALU_DEP_1) | instskip(NEXT) | instid1(VALU_DEP_1)
	v_mov_b32_dpp v26, v3 row_shr:2 row_mask:0xf bank_mask:0xf
	v_cndmask_b32_e64 v26, 0, v26, s1
	s_delay_alu instid0(VALU_DEP_1) | instskip(NEXT) | instid1(VALU_DEP_1)
	v_add_nc_u32_e32 v3, v3, v26
	v_mov_b32_dpp v26, v3 row_shr:4 row_mask:0xf bank_mask:0xf
	s_delay_alu instid0(VALU_DEP_1) | instskip(NEXT) | instid1(VALU_DEP_1)
	v_cndmask_b32_e64 v26, 0, v26, s2
	v_add_nc_u32_e32 v3, v3, v26
	s_delay_alu instid0(VALU_DEP_1) | instskip(NEXT) | instid1(VALU_DEP_1)
	v_mov_b32_dpp v26, v3 row_shr:8 row_mask:0xf bank_mask:0xf
	v_cndmask_b32_e64 v26, 0, v26, s3
	s_delay_alu instid0(VALU_DEP_1) | instskip(SKIP_3) | instid1(VALU_DEP_1)
	v_add_nc_u32_e32 v3, v3, v26
	ds_swizzle_b32 v26, v3 offset:swizzle(BROADCAST,32,15)
	s_waitcnt lgkmcnt(0)
	v_cndmask_b32_e64 v26, v26, 0, s4
	v_add_nc_u32_e32 v3, v3, v26
	s_and_saveexec_b32 s11, s5
	s_cbranch_execz .LBB54_22
; %bb.21:                               ;   in Loop: Header=BB54_18 Depth=1
	ds_store_b32 v35, v3
.LBB54_22:                              ;   in Loop: Header=BB54_18 Depth=1
	s_or_b32 exec_lo, exec_lo, s11
	s_waitcnt lgkmcnt(0)
	s_barrier
	buffer_gl0_inv
	s_and_saveexec_b32 s11, s6
	s_cbranch_execz .LBB54_24
; %bb.23:                               ;   in Loop: Header=BB54_18 Depth=1
	ds_load_b32 v26, v38
	s_waitcnt lgkmcnt(0)
	v_mov_b32_dpp v27, v26 row_shr:1 row_mask:0xf bank_mask:0xf
	s_delay_alu instid0(VALU_DEP_1) | instskip(NEXT) | instid1(VALU_DEP_1)
	v_cndmask_b32_e64 v27, v27, 0, s10
	v_add_nc_u32_e32 v26, v27, v26
	ds_store_b32 v38, v26
.LBB54_24:                              ;   in Loop: Header=BB54_18 Depth=1
	s_or_b32 exec_lo, exec_lo, s11
	v_mov_b32_e32 v26, 0
	s_waitcnt lgkmcnt(0)
	s_barrier
	buffer_gl0_inv
	s_and_saveexec_b32 s11, s7
	s_cbranch_execz .LBB54_26
; %bb.25:                               ;   in Loop: Header=BB54_18 Depth=1
	ds_load_b32 v26, v36
.LBB54_26:                              ;   in Loop: Header=BB54_18 Depth=1
	s_or_b32 exec_lo, exec_lo, s11
	s_waitcnt lgkmcnt(0)
	v_add_nc_u32_e32 v3, v26, v3
	s_cmpk_gt_u32 s12, 0x77
	ds_bpermute_b32 v3, v34, v3
	s_waitcnt lgkmcnt(0)
	v_cndmask_b32_e64 v3, v3, v26, s8
	s_delay_alu instid0(VALU_DEP_1) | instskip(NEXT) | instid1(VALU_DEP_1)
	v_cndmask_b32_e64 v3, v3, 0, s9
	v_add_nc_u32_e32 v4, v3, v4
	s_delay_alu instid0(VALU_DEP_1) | instskip(NEXT) | instid1(VALU_DEP_1)
	v_add_nc_u32_e32 v5, v4, v5
	v_add_nc_u32_e32 v6, v5, v6
	s_delay_alu instid0(VALU_DEP_1) | instskip(NEXT) | instid1(VALU_DEP_1)
	v_add_nc_u32_e32 v26, v6, v7
	;; [unrolled: 3-line block ×3, first 2 shown]
	v_add_nc_u32_e32 v1, v0, v2
	ds_store_2addr_b64 v31, v[3:4], v[5:6] offset0:1 offset1:2
	ds_store_2addr_b64 v32, v[26:27], v[0:1] offset0:2 offset1:3
	s_waitcnt lgkmcnt(0)
	s_barrier
	buffer_gl0_inv
	ds_load_b32 v0, v25
	s_waitcnt lgkmcnt(0)
	v_add_nc_u32_e32 v0, v0, v8
	s_cbranch_scc0 .LBB54_17
; %bb.27:
                                        ; implicit-def: $sgpr12
                                        ; implicit-def: $vgpr5_vgpr6
                                        ; implicit-def: $vgpr1_vgpr2
.LBB54_28:
	s_delay_alu instid0(VALU_DEP_1)
	v_dual_mov_b32 v21, v30 :: v_dual_lshlrev_b32 v0, 4, v0
	s_barrier
	buffer_gl0_inv
	ds_store_b128 v0, v[9:12]
	s_waitcnt lgkmcnt(0)
	s_barrier
	buffer_gl0_inv
	ds_load_b128 v[9:12], v30
	s_waitcnt lgkmcnt(0)
	s_barrier
	buffer_gl0_inv
	ds_store_b128 v0, v[13:16]
	s_waitcnt lgkmcnt(0)
	s_barrier
.LBB54_29:
	s_waitcnt vmcnt(0)
	buffer_gl0_inv
	ds_load_b128 v[0:3], v21
	global_store_b128 v[17:18], v[9:12], off
	s_waitcnt lgkmcnt(0)
	global_store_b128 v[19:20], v[0:3], off
	s_nop 0
	s_sendmsg sendmsg(MSG_DEALLOC_VGPRS)
	s_endpgm
	.section	.rodata,"a",@progbits
	.p2align	6, 0x0
	.amdhsa_kernel _Z21sort_key_value_kernelILj64ELj1ELb0ELb0EooEvPT3_PT4_jj
		.amdhsa_group_segment_fixed_size 2064
		.amdhsa_private_segment_fixed_size 0
		.amdhsa_kernarg_size 280
		.amdhsa_user_sgpr_count 15
		.amdhsa_user_sgpr_dispatch_ptr 0
		.amdhsa_user_sgpr_queue_ptr 0
		.amdhsa_user_sgpr_kernarg_segment_ptr 1
		.amdhsa_user_sgpr_dispatch_id 0
		.amdhsa_user_sgpr_private_segment_size 0
		.amdhsa_wavefront_size32 1
		.amdhsa_uses_dynamic_stack 0
		.amdhsa_enable_private_segment 0
		.amdhsa_system_sgpr_workgroup_id_x 1
		.amdhsa_system_sgpr_workgroup_id_y 0
		.amdhsa_system_sgpr_workgroup_id_z 0
		.amdhsa_system_sgpr_workgroup_info 0
		.amdhsa_system_vgpr_workitem_id 2
		.amdhsa_next_free_vgpr 42
		.amdhsa_next_free_sgpr 22
		.amdhsa_reserve_vcc 1
		.amdhsa_float_round_mode_32 0
		.amdhsa_float_round_mode_16_64 0
		.amdhsa_float_denorm_mode_32 3
		.amdhsa_float_denorm_mode_16_64 3
		.amdhsa_dx10_clamp 1
		.amdhsa_ieee_mode 1
		.amdhsa_fp16_overflow 0
		.amdhsa_workgroup_processor_mode 1
		.amdhsa_memory_ordered 1
		.amdhsa_forward_progress 0
		.amdhsa_shared_vgpr_count 0
		.amdhsa_exception_fp_ieee_invalid_op 0
		.amdhsa_exception_fp_denorm_src 0
		.amdhsa_exception_fp_ieee_div_zero 0
		.amdhsa_exception_fp_ieee_overflow 0
		.amdhsa_exception_fp_ieee_underflow 0
		.amdhsa_exception_fp_ieee_inexact 0
		.amdhsa_exception_int_div_zero 0
	.end_amdhsa_kernel
	.section	.text._Z21sort_key_value_kernelILj64ELj1ELb0ELb0EooEvPT3_PT4_jj,"axG",@progbits,_Z21sort_key_value_kernelILj64ELj1ELb0ELb0EooEvPT3_PT4_jj,comdat
.Lfunc_end54:
	.size	_Z21sort_key_value_kernelILj64ELj1ELb0ELb0EooEvPT3_PT4_jj, .Lfunc_end54-_Z21sort_key_value_kernelILj64ELj1ELb0ELb0EooEvPT3_PT4_jj
                                        ; -- End function
	.section	.AMDGPU.csdata,"",@progbits
; Kernel info:
; codeLenInByte = 2856
; NumSgprs: 24
; NumVgprs: 42
; ScratchSize: 0
; MemoryBound: 0
; FloatMode: 240
; IeeeMode: 1
; LDSByteSize: 2064 bytes/workgroup (compile time only)
; SGPRBlocks: 2
; VGPRBlocks: 5
; NumSGPRsForWavesPerEU: 24
; NumVGPRsForWavesPerEU: 42
; Occupancy: 16
; WaveLimiterHint : 0
; COMPUTE_PGM_RSRC2:SCRATCH_EN: 0
; COMPUTE_PGM_RSRC2:USER_SGPR: 15
; COMPUTE_PGM_RSRC2:TRAP_HANDLER: 0
; COMPUTE_PGM_RSRC2:TGID_X_EN: 1
; COMPUTE_PGM_RSRC2:TGID_Y_EN: 0
; COMPUTE_PGM_RSRC2:TGID_Z_EN: 0
; COMPUTE_PGM_RSRC2:TIDIG_COMP_CNT: 2
	.section	.text._Z21sort_key_value_kernelILj64ELj1ELb0ELb0EnnEvPT3_PT4_jj,"axG",@progbits,_Z21sort_key_value_kernelILj64ELj1ELb0ELb0EnnEvPT3_PT4_jj,comdat
	.protected	_Z21sort_key_value_kernelILj64ELj1ELb0ELb0EnnEvPT3_PT4_jj ; -- Begin function _Z21sort_key_value_kernelILj64ELj1ELb0ELb0EnnEvPT3_PT4_jj
	.globl	_Z21sort_key_value_kernelILj64ELj1ELb0ELb0EnnEvPT3_PT4_jj
	.p2align	8
	.type	_Z21sort_key_value_kernelILj64ELj1ELb0ELb0EnnEvPT3_PT4_jj,@function
_Z21sort_key_value_kernelILj64ELj1ELb0ELb0EnnEvPT3_PT4_jj: ; @_Z21sort_key_value_kernelILj64ELj1ELb0ELb0EnnEvPT3_PT4_jj
; %bb.0:
	s_clause 0x1
	s_load_b128 s[4:7], s[0:1], 0x0
	s_load_b64 s[16:17], s[0:1], 0x10
	v_mbcnt_lo_u32_b32 v11, -1, 0
	v_and_b32_e32 v25, 0x3ff, v0
	s_mov_b32 s19, 0
	s_lshl_b32 s18, s15, 6
	s_load_b32 s10, s[0:1], 0x24
	v_add_nc_u32_e32 v13, -1, v11
	s_lshl_b64 s[2:3], s[18:19], 4
	v_bfe_u32 v9, v0, 10, 10
	v_bfe_u32 v0, v0, 20, 10
	v_and_b32_e32 v10, 15, v11
	v_cmp_gt_i32_e32 vcc_lo, 0, v13
	v_lshlrev_b32_e32 v30, 4, v25
	v_and_b32_e32 v12, 16, v11
	v_and_b32_e32 v14, 1, v11
	v_cmp_eq_u32_e64 s1, 0, v10
	v_cndmask_b32_e32 v13, v13, v11, vcc_lo
	v_lshlrev_b32_e32 v31, 5, v25
	v_mul_i32_i24_e32 v15, 0xffffffe4, v25
	s_waitcnt lgkmcnt(0)
	s_add_u32 s12, s4, s2
	s_addc_u32 s13, s5, s3
	s_add_u32 s14, s6, s2
	global_load_b128 v[5:8], v30, s[12:13]
	s_addc_u32 s15, s7, s3
	s_cmp_eq_u32 s16, 0
	global_load_b128 v[1:4], v30, s[14:15]
	s_cselect_b32 s11, -1, 0
	s_cmpk_eq_i32 s17, 0x80
	v_cmp_lt_u32_e64 s2, 1, v10
	s_cselect_b32 s18, -1, 0
	s_lshr_b32 s20, s10, 16
	v_cmp_lt_u32_e64 s3, 3, v10
	v_cmp_lt_u32_e64 s4, 7, v10
	v_lshrrev_b32_e32 v10, 3, v25
	v_mad_u32_u24 v0, v0, s20, v9
	v_cmp_eq_u32_e64 s5, 0, v12
	v_and_b32_e32 v12, 32, v25
	s_and_b32 s10, s10, 0xffff
	v_and_b32_e32 v33, 4, v10
	v_mad_u64_u32 v[9:10], null, v0, s10, v[25:26]
	v_cmp_eq_u32_e64 s9, 0, v14
	v_or_b32_e32 v14, 31, v12
	v_or_b32_e32 v0, v11, v12
	v_cmp_eq_u32_e64 s0, 0, v11
	v_cmp_gt_u32_e64 s6, 2, v25
	v_cmp_lt_u32_e64 s7, 31, v25
	v_cmp_eq_u32_e64 s8, 0, v25
	v_or_b32_e32 v32, 8, v31
	v_lshlrev_b32_e32 v34, 2, v13
	v_cmp_eq_u32_e64 s10, v14, v25
	v_add_nc_u32_e32 v35, -4, v33
	v_lshlrev_b32_e32 v36, 4, v0
	v_lshrrev_b32_e32 v37, 5, v9
	v_add_nc_u32_e32 v38, v31, v15
	s_and_b32 s11, s11, s18
	s_delay_alu instid0(SALU_CYCLE_1)
	s_and_b32 vcc_lo, exec_lo, s11
	s_mov_b32 s11, -1
	s_waitcnt vmcnt(1)
	v_xor_b32_e32 v8, 0x80000000, v8
	s_cbranch_vccnz .LBB55_14
; %bb.1:
	s_mov_b32 s18, s19
	s_mov_b32 s20, s19
	;; [unrolled: 1-line block ×3, first 2 shown]
	v_dual_mov_b32 v27, s19 :: v_dual_mov_b32 v26, s18
	v_dual_mov_b32 v29, s21 :: v_dual_mov_b32 v28, s20
	s_waitcnt vmcnt(0)
	v_dual_mov_b32 v18, v2 :: v_dual_mov_b32 v17, v1
	v_dual_mov_b32 v20, v4 :: v_dual_mov_b32 v19, v3
	;; [unrolled: 1-line block ×4, first 2 shown]
	s_sub_i32 s18, s17, s16
	s_branch .LBB55_3
.LBB55_2:                               ;   in Loop: Header=BB55_3 Depth=1
	s_barrier
	buffer_gl0_inv
	ds_store_b128 v0, v[9:12]
	s_waitcnt lgkmcnt(0)
	s_barrier
	buffer_gl0_inv
	ds_load_b128 v[21:24], v36
	s_waitcnt lgkmcnt(0)
	s_barrier
	buffer_gl0_inv
	ds_store_b128 v0, v[13:16]
	s_waitcnt lgkmcnt(0)
	s_barrier
	buffer_gl0_inv
	ds_load_b128 v[17:20], v36
	s_add_i32 s18, s18, -8
	s_waitcnt lgkmcnt(0)
	s_barrier
	buffer_gl0_inv
	s_cbranch_execz .LBB55_13
.LBB55_3:                               ; =>This Inner Loop Header: Depth=1
	s_delay_alu instid0(VALU_DEP_2) | instskip(NEXT) | instid1(VALU_DEP_2)
	v_dual_mov_b32 v9, v21 :: v_dual_mov_b32 v10, v22
	v_dual_mov_b32 v11, v23 :: v_dual_mov_b32 v12, v24
	s_sub_i32 s11, 64, s16
	ds_store_2addr_b64 v31, v[26:27], v[28:29] offset0:1 offset1:2
	ds_store_2addr_b64 v32, v[26:27], v[28:29] offset0:2 offset1:3
	v_lshrrev_b64 v[13:14], s16, v[9:10]
	s_waitcnt lgkmcnt(0)
	v_lshlrev_b64 v[14:15], s11, v[11:12]
	s_sub_i32 s11, s16, 64
	s_barrier
	v_lshrrev_b64 v[15:16], s11, v[11:12]
	s_min_u32 s11, s18, 8
	s_cmp_lt_u32 s16, 64
	v_or_b32_e32 v0, v13, v14
	s_cselect_b32 vcc_lo, -1, 0
	s_cmp_eq_u32 s16, 0
	buffer_gl0_inv
	v_cndmask_b32_e32 v0, v15, v0, vcc_lo
	s_cselect_b32 vcc_lo, -1, 0
	; wave barrier
	s_delay_alu instid0(VALU_DEP_1) | instskip(NEXT) | instid1(VALU_DEP_1)
	v_cndmask_b32_e32 v0, v0, v9, vcc_lo
	v_bfe_u32 v22, v0, 0, s11
	s_delay_alu instid0(VALU_DEP_1)
	v_lshlrev_b32_e32 v15, 28, v22
	v_and_b32_e32 v0, 1, v22
	v_lshlrev_b32_e32 v13, 30, v22
	v_lshlrev_b32_e32 v14, 29, v22
	;; [unrolled: 1-line block ×4, first 2 shown]
	v_add_co_u32 v0, s11, v0, -1
	s_delay_alu instid0(VALU_DEP_1)
	v_cndmask_b32_e64 v16, 0, 1, s11
	v_not_b32_e32 v39, v13
	v_cmp_gt_i32_e64 s11, 0, v13
	v_not_b32_e32 v13, v14
	v_lshlrev_b32_e32 v24, 25, v22
	v_cmp_ne_u32_e32 vcc_lo, 0, v16
	v_ashrrev_i32_e32 v39, 31, v39
	v_lshlrev_b32_e32 v16, 24, v22
	v_ashrrev_i32_e32 v13, 31, v13
	v_xor_b32_e32 v0, vcc_lo, v0
	v_cmp_gt_i32_e32 vcc_lo, 0, v14
	v_not_b32_e32 v14, v15
	v_xor_b32_e32 v39, s11, v39
	v_cmp_gt_i32_e64 s11, 0, v15
	v_and_b32_e32 v0, exec_lo, v0
	v_not_b32_e32 v15, v21
	v_ashrrev_i32_e32 v14, 31, v14
	v_xor_b32_e32 v13, vcc_lo, v13
	v_cmp_gt_i32_e32 vcc_lo, 0, v21
	v_and_b32_e32 v0, v0, v39
	v_not_b32_e32 v21, v23
	v_ashrrev_i32_e32 v15, 31, v15
	v_xor_b32_e32 v14, s11, v14
	v_cmp_gt_i32_e64 s11, 0, v23
	v_and_b32_e32 v0, v0, v13
	v_not_b32_e32 v13, v24
	v_ashrrev_i32_e32 v21, 31, v21
	v_xor_b32_e32 v15, vcc_lo, v15
	v_cmp_gt_i32_e32 vcc_lo, 0, v24
	v_and_b32_e32 v0, v0, v14
	v_not_b32_e32 v14, v16
	v_ashrrev_i32_e32 v13, 31, v13
	v_xor_b32_e32 v21, s11, v21
	v_cmp_gt_i32_e64 s11, 0, v16
	v_and_b32_e32 v0, v0, v15
	v_ashrrev_i32_e32 v14, 31, v14
	v_xor_b32_e32 v13, vcc_lo, v13
	v_dual_mov_b32 v15, v19 :: v_dual_mov_b32 v16, v20
	s_delay_alu instid0(VALU_DEP_4) | instskip(NEXT) | instid1(VALU_DEP_4)
	v_and_b32_e32 v0, v0, v21
	v_xor_b32_e32 v14, s11, v14
	s_delay_alu instid0(VALU_DEP_2) | instskip(NEXT) | instid1(VALU_DEP_1)
	v_and_b32_e32 v0, v0, v13
	v_and_b32_e32 v21, v0, v14
	v_dual_mov_b32 v13, v17 :: v_dual_mov_b32 v14, v18
	v_lshl_add_u32 v17, v22, 1, v37
	s_delay_alu instid0(VALU_DEP_3) | instskip(SKIP_1) | instid1(VALU_DEP_3)
	v_mbcnt_lo_u32_b32 v0, v21, 0
	v_cmp_ne_u32_e64 s11, 0, v21
	v_lshl_add_u32 v39, v17, 2, 8
	s_delay_alu instid0(VALU_DEP_3) | instskip(NEXT) | instid1(VALU_DEP_3)
	v_cmp_eq_u32_e32 vcc_lo, 0, v0
	s_and_b32 s19, s11, vcc_lo
	s_delay_alu instid0(SALU_CYCLE_1)
	s_and_saveexec_b32 s11, s19
	s_cbranch_execz .LBB55_5
; %bb.4:                                ;   in Loop: Header=BB55_3 Depth=1
	v_bcnt_u32_b32 v17, v21, 0
	ds_store_b32 v39, v17
.LBB55_5:                               ;   in Loop: Header=BB55_3 Depth=1
	s_or_b32 exec_lo, exec_lo, s11
	; wave barrier
	s_waitcnt lgkmcnt(0)
	s_barrier
	buffer_gl0_inv
	ds_load_2addr_b64 v[21:24], v31 offset0:1 offset1:2
	ds_load_2addr_b64 v[17:20], v32 offset0:2 offset1:3
	s_waitcnt lgkmcnt(1)
	v_add_nc_u32_e32 v40, v22, v21
	s_delay_alu instid0(VALU_DEP_1) | instskip(SKIP_1) | instid1(VALU_DEP_1)
	v_add3_u32 v40, v40, v23, v24
	s_waitcnt lgkmcnt(0)
	v_add3_u32 v40, v40, v17, v18
	s_delay_alu instid0(VALU_DEP_1) | instskip(NEXT) | instid1(VALU_DEP_1)
	v_add3_u32 v20, v40, v19, v20
	v_mov_b32_dpp v40, v20 row_shr:1 row_mask:0xf bank_mask:0xf
	s_delay_alu instid0(VALU_DEP_1) | instskip(NEXT) | instid1(VALU_DEP_1)
	v_cndmask_b32_e64 v40, v40, 0, s1
	v_add_nc_u32_e32 v20, v40, v20
	s_delay_alu instid0(VALU_DEP_1) | instskip(NEXT) | instid1(VALU_DEP_1)
	v_mov_b32_dpp v40, v20 row_shr:2 row_mask:0xf bank_mask:0xf
	v_cndmask_b32_e64 v40, 0, v40, s2
	s_delay_alu instid0(VALU_DEP_1) | instskip(NEXT) | instid1(VALU_DEP_1)
	v_add_nc_u32_e32 v20, v20, v40
	v_mov_b32_dpp v40, v20 row_shr:4 row_mask:0xf bank_mask:0xf
	s_delay_alu instid0(VALU_DEP_1) | instskip(NEXT) | instid1(VALU_DEP_1)
	v_cndmask_b32_e64 v40, 0, v40, s3
	v_add_nc_u32_e32 v20, v20, v40
	s_delay_alu instid0(VALU_DEP_1) | instskip(NEXT) | instid1(VALU_DEP_1)
	v_mov_b32_dpp v40, v20 row_shr:8 row_mask:0xf bank_mask:0xf
	v_cndmask_b32_e64 v40, 0, v40, s4
	s_delay_alu instid0(VALU_DEP_1) | instskip(SKIP_3) | instid1(VALU_DEP_1)
	v_add_nc_u32_e32 v20, v20, v40
	ds_swizzle_b32 v40, v20 offset:swizzle(BROADCAST,32,15)
	s_waitcnt lgkmcnt(0)
	v_cndmask_b32_e64 v40, v40, 0, s5
	v_add_nc_u32_e32 v20, v20, v40
	s_and_saveexec_b32 s11, s10
	s_cbranch_execz .LBB55_7
; %bb.6:                                ;   in Loop: Header=BB55_3 Depth=1
	ds_store_b32 v33, v20
.LBB55_7:                               ;   in Loop: Header=BB55_3 Depth=1
	s_or_b32 exec_lo, exec_lo, s11
	s_waitcnt lgkmcnt(0)
	s_barrier
	buffer_gl0_inv
	s_and_saveexec_b32 s11, s6
	s_cbranch_execz .LBB55_9
; %bb.8:                                ;   in Loop: Header=BB55_3 Depth=1
	ds_load_b32 v40, v38
	s_waitcnt lgkmcnt(0)
	v_mov_b32_dpp v41, v40 row_shr:1 row_mask:0xf bank_mask:0xf
	s_delay_alu instid0(VALU_DEP_1) | instskip(NEXT) | instid1(VALU_DEP_1)
	v_cndmask_b32_e64 v41, v41, 0, s9
	v_add_nc_u32_e32 v40, v41, v40
	ds_store_b32 v38, v40
.LBB55_9:                               ;   in Loop: Header=BB55_3 Depth=1
	s_or_b32 exec_lo, exec_lo, s11
	v_mov_b32_e32 v40, 0
	s_waitcnt lgkmcnt(0)
	s_barrier
	buffer_gl0_inv
	s_and_saveexec_b32 s11, s7
	s_cbranch_execz .LBB55_11
; %bb.10:                               ;   in Loop: Header=BB55_3 Depth=1
	ds_load_b32 v40, v35
.LBB55_11:                              ;   in Loop: Header=BB55_3 Depth=1
	s_or_b32 exec_lo, exec_lo, s11
	s_waitcnt lgkmcnt(0)
	v_add_nc_u32_e32 v20, v40, v20
	v_lshlrev_b32_e32 v0, 4, v0
	s_add_i32 s16, s16, 8
	s_delay_alu instid0(SALU_CYCLE_1) | instskip(SKIP_3) | instid1(VALU_DEP_1)
	s_cmp_ge_u32 s16, s17
	ds_bpermute_b32 v20, v34, v20
	s_waitcnt lgkmcnt(0)
	v_cndmask_b32_e64 v20, v20, v40, s0
	v_cndmask_b32_e64 v20, v20, 0, s8
	s_delay_alu instid0(VALU_DEP_1) | instskip(NEXT) | instid1(VALU_DEP_1)
	v_add_nc_u32_e32 v21, v20, v21
	v_add_nc_u32_e32 v22, v21, v22
	s_delay_alu instid0(VALU_DEP_1) | instskip(NEXT) | instid1(VALU_DEP_1)
	v_add_nc_u32_e32 v23, v22, v23
	v_add_nc_u32_e32 v40, v23, v24
	;; [unrolled: 3-line block ×3, first 2 shown]
	s_delay_alu instid0(VALU_DEP_1)
	v_add_nc_u32_e32 v18, v17, v19
	ds_store_2addr_b64 v31, v[20:21], v[22:23] offset0:1 offset1:2
	ds_store_2addr_b64 v32, v[40:41], v[17:18] offset0:2 offset1:3
	s_waitcnt lgkmcnt(0)
	s_barrier
	buffer_gl0_inv
	ds_load_b32 v17, v39
	s_waitcnt lgkmcnt(0)
	v_lshl_add_u32 v0, v17, 4, v0
	s_cbranch_scc0 .LBB55_2
; %bb.12:
                                        ; implicit-def: $vgpr21_vgpr22
                                        ; implicit-def: $vgpr17_vgpr18
                                        ; implicit-def: $sgpr18
.LBB55_13:
	v_lshlrev_b32_e32 v21, 4, v25
	s_barrier
	buffer_gl0_inv
	ds_store_b128 v0, v[9:12]
	s_waitcnt lgkmcnt(0)
	s_barrier
	buffer_gl0_inv
	ds_load_b128 v[9:12], v21
	s_waitcnt lgkmcnt(0)
	s_barrier
	buffer_gl0_inv
	ds_store_b128 v0, v[13:16]
	s_waitcnt lgkmcnt(0)
	s_mov_b32 s11, 0
	s_barrier
	s_branch .LBB55_15
.LBB55_14:
                                        ; implicit-def: $vgpr21
                                        ; implicit-def: $vgpr9_vgpr10
.LBB55_15:
	v_add_co_u32 v17, s12, s12, v30
	s_delay_alu instid0(VALU_DEP_1) | instskip(SKIP_1) | instid1(VALU_DEP_1)
	v_add_co_ci_u32_e64 v18, null, s13, 0, s12
	v_add_co_u32 v19, s12, s14, v30
	v_add_co_ci_u32_e64 v20, null, s15, 0, s12
	s_and_b32 vcc_lo, exec_lo, s11
	s_cbranch_vccz .LBB55_29
; %bb.16:
	s_mov_b32 s12, 0
	s_delay_alu instid0(SALU_CYCLE_1)
	s_mov_b32 s13, s12
	s_mov_b32 s14, s12
	;; [unrolled: 1-line block ×3, first 2 shown]
	v_dual_mov_b32 v22, s13 :: v_dual_mov_b32 v21, s12
	v_dual_mov_b32 v24, s15 :: v_dual_mov_b32 v23, s14
	s_branch .LBB55_18
.LBB55_17:                              ;   in Loop: Header=BB55_18 Depth=1
	s_delay_alu instid0(VALU_DEP_1)
	v_lshlrev_b32_e32 v1, 4, v0
	s_barrier
	buffer_gl0_inv
	s_add_i32 s12, s12, 8
	ds_store_b128 v1, v[9:12]
	s_waitcnt lgkmcnt(0)
	s_barrier
	buffer_gl0_inv
	ds_load_b128 v[5:8], v36
	s_waitcnt lgkmcnt(0)
	s_barrier
	buffer_gl0_inv
	ds_store_b128 v1, v[13:16]
	s_waitcnt lgkmcnt(0)
	s_barrier
	buffer_gl0_inv
	ds_load_b128 v[1:4], v36
	s_waitcnt lgkmcnt(0)
	s_barrier
	buffer_gl0_inv
	s_cbranch_execz .LBB55_28
.LBB55_18:                              ; =>This Inner Loop Header: Depth=1
	v_dual_mov_b32 v10, v6 :: v_dual_mov_b32 v9, v5
	v_dual_mov_b32 v12, v8 :: v_dual_mov_b32 v11, v7
	s_sub_i32 s11, 64, s12
	ds_store_2addr_b64 v31, v[21:22], v[23:24] offset0:1 offset1:2
	ds_store_2addr_b64 v32, v[21:22], v[23:24] offset0:2 offset1:3
	v_lshrrev_b64 v[5:6], s12, v[9:10]
	s_waitcnt vmcnt(0) lgkmcnt(0)
	v_lshlrev_b64 v[6:7], s11, v[11:12]
	s_sub_i32 s11, s12, 64
	s_cmp_lt_u32 s12, 64
	v_lshrrev_b64 v[7:8], s11, v[11:12]
	s_cselect_b32 vcc_lo, -1, 0
	s_cmp_eq_u32 s12, 0
	v_or_b32_e32 v0, v5, v6
	s_barrier
	buffer_gl0_inv
	; wave barrier
	v_cndmask_b32_e32 v0, v7, v0, vcc_lo
	s_cselect_b32 vcc_lo, -1, 0
	s_delay_alu instid0(VALU_DEP_1) | instskip(NEXT) | instid1(VALU_DEP_1)
	v_cndmask_b32_e32 v5, v0, v9, vcc_lo
	v_and_b32_e32 v0, 1, v5
	s_delay_alu instid0(VALU_DEP_1) | instskip(NEXT) | instid1(VALU_DEP_1)
	v_add_co_u32 v0, s11, v0, -1
	v_cndmask_b32_e64 v13, 0, 1, s11
	s_delay_alu instid0(VALU_DEP_1) | instskip(NEXT) | instid1(VALU_DEP_3)
	v_cmp_ne_u32_e32 vcc_lo, 0, v13
	v_xor_b32_e32 v0, vcc_lo, v0
	s_delay_alu instid0(VALU_DEP_1)
	v_and_b32_e32 v0, exec_lo, v0
	v_lshlrev_b32_e32 v6, 30, v5
	v_lshlrev_b32_e32 v7, 29, v5
	;; [unrolled: 1-line block ×5, first 2 shown]
	v_not_b32_e32 v25, v6
	v_cmp_gt_i32_e64 s11, 0, v6
	v_not_b32_e32 v6, v7
	v_cmp_gt_i32_e32 vcc_lo, 0, v7
	v_not_b32_e32 v7, v8
	v_ashrrev_i32_e32 v25, 31, v25
	v_lshlrev_b32_e32 v16, 25, v5
	v_ashrrev_i32_e32 v6, 31, v6
	v_lshlrev_b32_e32 v13, 24, v5
	v_ashrrev_i32_e32 v7, 31, v7
	v_xor_b32_e32 v25, s11, v25
	v_cmp_gt_i32_e64 s11, 0, v8
	v_not_b32_e32 v8, v14
	v_xor_b32_e32 v6, vcc_lo, v6
	v_cmp_gt_i32_e32 vcc_lo, 0, v14
	v_and_b32_e32 v0, v0, v25
	v_not_b32_e32 v14, v15
	v_ashrrev_i32_e32 v8, 31, v8
	v_xor_b32_e32 v7, s11, v7
	v_cmp_gt_i32_e64 s11, 0, v15
	v_and_b32_e32 v0, v0, v6
	v_not_b32_e32 v6, v16
	v_ashrrev_i32_e32 v14, 31, v14
	v_xor_b32_e32 v8, vcc_lo, v8
	v_cmp_gt_i32_e32 vcc_lo, 0, v16
	v_mov_b32_e32 v16, v4
	v_and_b32_e32 v0, v0, v7
	v_not_b32_e32 v7, v13
	v_ashrrev_i32_e32 v6, 31, v6
	v_xor_b32_e32 v14, s11, v14
	v_cmp_gt_i32_e64 s11, 0, v13
	v_and_b32_e32 v0, v0, v8
	v_ashrrev_i32_e32 v7, 31, v7
	v_xor_b32_e32 v6, vcc_lo, v6
	v_mov_b32_e32 v15, v3
	v_and_b32_e32 v3, 0xff, v5
	v_and_b32_e32 v0, v0, v14
	v_xor_b32_e32 v7, s11, v7
	v_dual_mov_b32 v14, v2 :: v_dual_mov_b32 v13, v1
	s_delay_alu instid0(VALU_DEP_4) | instskip(NEXT) | instid1(VALU_DEP_4)
	v_lshl_add_u32 v1, v3, 1, v37
	v_and_b32_e32 v0, v0, v6
	s_delay_alu instid0(VALU_DEP_2) | instskip(NEXT) | instid1(VALU_DEP_2)
	v_lshl_add_u32 v25, v1, 2, 8
	v_and_b32_e32 v0, v0, v7
	s_delay_alu instid0(VALU_DEP_1) | instskip(SKIP_1) | instid1(VALU_DEP_2)
	v_mbcnt_lo_u32_b32 v8, v0, 0
	v_cmp_ne_u32_e64 s11, 0, v0
	v_cmp_eq_u32_e32 vcc_lo, 0, v8
	s_delay_alu instid0(VALU_DEP_2) | instskip(NEXT) | instid1(SALU_CYCLE_1)
	s_and_b32 s13, s11, vcc_lo
	s_and_saveexec_b32 s11, s13
	s_cbranch_execz .LBB55_20
; %bb.19:                               ;   in Loop: Header=BB55_18 Depth=1
	v_bcnt_u32_b32 v0, v0, 0
	ds_store_b32 v25, v0
.LBB55_20:                              ;   in Loop: Header=BB55_18 Depth=1
	s_or_b32 exec_lo, exec_lo, s11
	; wave barrier
	s_waitcnt lgkmcnt(0)
	s_barrier
	buffer_gl0_inv
	ds_load_2addr_b64 v[4:7], v31 offset0:1 offset1:2
	ds_load_2addr_b64 v[0:3], v32 offset0:2 offset1:3
	s_waitcnt lgkmcnt(1)
	v_add_nc_u32_e32 v26, v5, v4
	s_delay_alu instid0(VALU_DEP_1) | instskip(SKIP_1) | instid1(VALU_DEP_1)
	v_add3_u32 v26, v26, v6, v7
	s_waitcnt lgkmcnt(0)
	v_add3_u32 v26, v26, v0, v1
	s_delay_alu instid0(VALU_DEP_1) | instskip(NEXT) | instid1(VALU_DEP_1)
	v_add3_u32 v3, v26, v2, v3
	v_mov_b32_dpp v26, v3 row_shr:1 row_mask:0xf bank_mask:0xf
	s_delay_alu instid0(VALU_DEP_1) | instskip(NEXT) | instid1(VALU_DEP_1)
	v_cndmask_b32_e64 v26, v26, 0, s1
	v_add_nc_u32_e32 v3, v26, v3
	s_delay_alu instid0(VALU_DEP_1) | instskip(NEXT) | instid1(VALU_DEP_1)
	v_mov_b32_dpp v26, v3 row_shr:2 row_mask:0xf bank_mask:0xf
	v_cndmask_b32_e64 v26, 0, v26, s2
	s_delay_alu instid0(VALU_DEP_1) | instskip(NEXT) | instid1(VALU_DEP_1)
	v_add_nc_u32_e32 v3, v3, v26
	v_mov_b32_dpp v26, v3 row_shr:4 row_mask:0xf bank_mask:0xf
	s_delay_alu instid0(VALU_DEP_1) | instskip(NEXT) | instid1(VALU_DEP_1)
	v_cndmask_b32_e64 v26, 0, v26, s3
	v_add_nc_u32_e32 v3, v3, v26
	s_delay_alu instid0(VALU_DEP_1) | instskip(NEXT) | instid1(VALU_DEP_1)
	v_mov_b32_dpp v26, v3 row_shr:8 row_mask:0xf bank_mask:0xf
	v_cndmask_b32_e64 v26, 0, v26, s4
	s_delay_alu instid0(VALU_DEP_1) | instskip(SKIP_3) | instid1(VALU_DEP_1)
	v_add_nc_u32_e32 v3, v3, v26
	ds_swizzle_b32 v26, v3 offset:swizzle(BROADCAST,32,15)
	s_waitcnt lgkmcnt(0)
	v_cndmask_b32_e64 v26, v26, 0, s5
	v_add_nc_u32_e32 v3, v3, v26
	s_and_saveexec_b32 s11, s10
	s_cbranch_execz .LBB55_22
; %bb.21:                               ;   in Loop: Header=BB55_18 Depth=1
	ds_store_b32 v33, v3
.LBB55_22:                              ;   in Loop: Header=BB55_18 Depth=1
	s_or_b32 exec_lo, exec_lo, s11
	s_waitcnt lgkmcnt(0)
	s_barrier
	buffer_gl0_inv
	s_and_saveexec_b32 s11, s6
	s_cbranch_execz .LBB55_24
; %bb.23:                               ;   in Loop: Header=BB55_18 Depth=1
	ds_load_b32 v26, v38
	s_waitcnt lgkmcnt(0)
	v_mov_b32_dpp v27, v26 row_shr:1 row_mask:0xf bank_mask:0xf
	s_delay_alu instid0(VALU_DEP_1) | instskip(NEXT) | instid1(VALU_DEP_1)
	v_cndmask_b32_e64 v27, v27, 0, s9
	v_add_nc_u32_e32 v26, v27, v26
	ds_store_b32 v38, v26
.LBB55_24:                              ;   in Loop: Header=BB55_18 Depth=1
	s_or_b32 exec_lo, exec_lo, s11
	v_mov_b32_e32 v26, 0
	s_waitcnt lgkmcnt(0)
	s_barrier
	buffer_gl0_inv
	s_and_saveexec_b32 s11, s7
	s_cbranch_execz .LBB55_26
; %bb.25:                               ;   in Loop: Header=BB55_18 Depth=1
	ds_load_b32 v26, v35
.LBB55_26:                              ;   in Loop: Header=BB55_18 Depth=1
	s_or_b32 exec_lo, exec_lo, s11
	s_waitcnt lgkmcnt(0)
	v_add_nc_u32_e32 v3, v26, v3
	s_cmpk_gt_u32 s12, 0x77
	ds_bpermute_b32 v3, v34, v3
	s_waitcnt lgkmcnt(0)
	v_cndmask_b32_e64 v3, v3, v26, s0
	s_delay_alu instid0(VALU_DEP_1) | instskip(NEXT) | instid1(VALU_DEP_1)
	v_cndmask_b32_e64 v3, v3, 0, s8
	v_add_nc_u32_e32 v4, v3, v4
	s_delay_alu instid0(VALU_DEP_1) | instskip(NEXT) | instid1(VALU_DEP_1)
	v_add_nc_u32_e32 v5, v4, v5
	v_add_nc_u32_e32 v6, v5, v6
	s_delay_alu instid0(VALU_DEP_1) | instskip(NEXT) | instid1(VALU_DEP_1)
	v_add_nc_u32_e32 v26, v6, v7
	;; [unrolled: 3-line block ×3, first 2 shown]
	v_add_nc_u32_e32 v1, v0, v2
	ds_store_2addr_b64 v31, v[3:4], v[5:6] offset0:1 offset1:2
	ds_store_2addr_b64 v32, v[26:27], v[0:1] offset0:2 offset1:3
	s_waitcnt lgkmcnt(0)
	s_barrier
	buffer_gl0_inv
	ds_load_b32 v0, v25
	s_waitcnt lgkmcnt(0)
	v_add_nc_u32_e32 v0, v0, v8
	s_cbranch_scc0 .LBB55_17
; %bb.27:
                                        ; implicit-def: $sgpr12
                                        ; implicit-def: $vgpr5_vgpr6
                                        ; implicit-def: $vgpr1_vgpr2
.LBB55_28:
	s_delay_alu instid0(VALU_DEP_1)
	v_dual_mov_b32 v21, v30 :: v_dual_lshlrev_b32 v0, 4, v0
	s_barrier
	buffer_gl0_inv
	ds_store_b128 v0, v[9:12]
	s_waitcnt lgkmcnt(0)
	s_barrier
	buffer_gl0_inv
	ds_load_b128 v[9:12], v30
	s_waitcnt lgkmcnt(0)
	s_barrier
	buffer_gl0_inv
	ds_store_b128 v0, v[13:16]
	s_waitcnt lgkmcnt(0)
	s_barrier
.LBB55_29:
	s_waitcnt vmcnt(0)
	buffer_gl0_inv
	ds_load_b128 v[0:3], v21
	v_xor_b32_e32 v12, 0x80000000, v12
	global_store_b128 v[17:18], v[9:12], off
	s_waitcnt lgkmcnt(0)
	global_store_b128 v[19:20], v[0:3], off
	s_nop 0
	s_sendmsg sendmsg(MSG_DEALLOC_VGPRS)
	s_endpgm
	.section	.rodata,"a",@progbits
	.p2align	6, 0x0
	.amdhsa_kernel _Z21sort_key_value_kernelILj64ELj1ELb0ELb0EnnEvPT3_PT4_jj
		.amdhsa_group_segment_fixed_size 2064
		.amdhsa_private_segment_fixed_size 0
		.amdhsa_kernarg_size 280
		.amdhsa_user_sgpr_count 15
		.amdhsa_user_sgpr_dispatch_ptr 0
		.amdhsa_user_sgpr_queue_ptr 0
		.amdhsa_user_sgpr_kernarg_segment_ptr 1
		.amdhsa_user_sgpr_dispatch_id 0
		.amdhsa_user_sgpr_private_segment_size 0
		.amdhsa_wavefront_size32 1
		.amdhsa_uses_dynamic_stack 0
		.amdhsa_enable_private_segment 0
		.amdhsa_system_sgpr_workgroup_id_x 1
		.amdhsa_system_sgpr_workgroup_id_y 0
		.amdhsa_system_sgpr_workgroup_id_z 0
		.amdhsa_system_sgpr_workgroup_info 0
		.amdhsa_system_vgpr_workitem_id 2
		.amdhsa_next_free_vgpr 42
		.amdhsa_next_free_sgpr 22
		.amdhsa_reserve_vcc 1
		.amdhsa_float_round_mode_32 0
		.amdhsa_float_round_mode_16_64 0
		.amdhsa_float_denorm_mode_32 3
		.amdhsa_float_denorm_mode_16_64 3
		.amdhsa_dx10_clamp 1
		.amdhsa_ieee_mode 1
		.amdhsa_fp16_overflow 0
		.amdhsa_workgroup_processor_mode 1
		.amdhsa_memory_ordered 1
		.amdhsa_forward_progress 0
		.amdhsa_shared_vgpr_count 0
		.amdhsa_exception_fp_ieee_invalid_op 0
		.amdhsa_exception_fp_denorm_src 0
		.amdhsa_exception_fp_ieee_div_zero 0
		.amdhsa_exception_fp_ieee_overflow 0
		.amdhsa_exception_fp_ieee_underflow 0
		.amdhsa_exception_fp_ieee_inexact 0
		.amdhsa_exception_int_div_zero 0
	.end_amdhsa_kernel
	.section	.text._Z21sort_key_value_kernelILj64ELj1ELb0ELb0EnnEvPT3_PT4_jj,"axG",@progbits,_Z21sort_key_value_kernelILj64ELj1ELb0ELb0EnnEvPT3_PT4_jj,comdat
.Lfunc_end55:
	.size	_Z21sort_key_value_kernelILj64ELj1ELb0ELb0EnnEvPT3_PT4_jj, .Lfunc_end55-_Z21sort_key_value_kernelILj64ELj1ELb0ELb0EnnEvPT3_PT4_jj
                                        ; -- End function
	.section	.AMDGPU.csdata,"",@progbits
; Kernel info:
; codeLenInByte = 2852
; NumSgprs: 24
; NumVgprs: 42
; ScratchSize: 0
; MemoryBound: 0
; FloatMode: 240
; IeeeMode: 1
; LDSByteSize: 2064 bytes/workgroup (compile time only)
; SGPRBlocks: 2
; VGPRBlocks: 5
; NumSGPRsForWavesPerEU: 24
; NumVGPRsForWavesPerEU: 42
; Occupancy: 16
; WaveLimiterHint : 0
; COMPUTE_PGM_RSRC2:SCRATCH_EN: 0
; COMPUTE_PGM_RSRC2:USER_SGPR: 15
; COMPUTE_PGM_RSRC2:TRAP_HANDLER: 0
; COMPUTE_PGM_RSRC2:TGID_X_EN: 1
; COMPUTE_PGM_RSRC2:TGID_Y_EN: 0
; COMPUTE_PGM_RSRC2:TGID_Z_EN: 0
; COMPUTE_PGM_RSRC2:TIDIG_COMP_CNT: 2
	.text
	.p2alignl 7, 3214868480
	.fill 96, 4, 3214868480
	.type	__hip_cuid_5154009db643d0af,@object ; @__hip_cuid_5154009db643d0af
	.section	.bss,"aw",@nobits
	.globl	__hip_cuid_5154009db643d0af
__hip_cuid_5154009db643d0af:
	.byte	0                               ; 0x0
	.size	__hip_cuid_5154009db643d0af, 1

	.ident	"AMD clang version 19.0.0git (https://github.com/RadeonOpenCompute/llvm-project roc-6.4.0 25133 c7fe45cf4b819c5991fe208aaa96edf142730f1d)"
	.section	".note.GNU-stack","",@progbits
	.addrsig
	.addrsig_sym __hip_cuid_5154009db643d0af
	.amdgpu_metadata
---
amdhsa.kernels:
  - .args:
      - .address_space:  global
        .offset:         0
        .size:           8
        .value_kind:     global_buffer
      - .offset:         8
        .size:           4
        .value_kind:     by_value
      - .offset:         12
        .size:           4
        .value_kind:     by_value
    .group_segment_fixed_size: 8192
    .kernarg_segment_align: 8
    .kernarg_segment_size: 16
    .language:       OpenCL C
    .language_version:
      - 2
      - 0
    .max_flat_workgroup_size: 255
    .name:           _Z15sort_key_kernelILj255ELj1ELb1ELb0EN10test_utils16custom_test_typeIhEEEvPT3_jj
    .private_segment_fixed_size: 0
    .sgpr_count:     28
    .sgpr_spill_count: 0
    .symbol:         _Z15sort_key_kernelILj255ELj1ELb1ELb0EN10test_utils16custom_test_typeIhEEEvPT3_jj.kd
    .uniform_work_group_size: 1
    .uses_dynamic_stack: false
    .vgpr_count:     29
    .vgpr_spill_count: 0
    .wavefront_size: 32
    .workgroup_processor_mode: 1
  - .args:
      - .address_space:  global
        .offset:         0
        .size:           8
        .value_kind:     global_buffer
      - .offset:         8
        .size:           4
        .value_kind:     by_value
      - .offset:         12
        .size:           4
        .value_kind:     by_value
    .group_segment_fixed_size: 4160
    .kernarg_segment_align: 8
    .kernarg_segment_size: 16
    .language:       OpenCL C
    .language_version:
      - 2
      - 0
    .max_flat_workgroup_size: 129
    .name:           _Z15sort_key_kernelILj129ELj2ELb0ELb1EN10test_utils16custom_test_typeIfEEEvPT3_jj
    .private_segment_fixed_size: 0
    .sgpr_count:     33
    .sgpr_spill_count: 0
    .symbol:         _Z15sort_key_kernelILj129ELj2ELb0ELb1EN10test_utils16custom_test_typeIfEEEvPT3_jj.kd
    .uniform_work_group_size: 1
    .uses_dynamic_stack: false
    .vgpr_count:     32
    .vgpr_spill_count: 0
    .wavefront_size: 32
    .workgroup_processor_mode: 1
  - .args:
      - .address_space:  global
        .offset:         0
        .size:           8
        .value_kind:     global_buffer
      - .offset:         8
        .size:           4
        .value_kind:     by_value
      - .offset:         12
        .size:           4
        .value_kind:     by_value
      - .offset:         16
        .size:           4
        .value_kind:     hidden_block_count_x
      - .offset:         20
        .size:           4
        .value_kind:     hidden_block_count_y
      - .offset:         24
        .size:           4
        .value_kind:     hidden_block_count_z
      - .offset:         28
        .size:           2
        .value_kind:     hidden_group_size_x
      - .offset:         30
        .size:           2
        .value_kind:     hidden_group_size_y
      - .offset:         32
        .size:           2
        .value_kind:     hidden_group_size_z
      - .offset:         34
        .size:           2
        .value_kind:     hidden_remainder_x
      - .offset:         36
        .size:           2
        .value_kind:     hidden_remainder_y
      - .offset:         38
        .size:           2
        .value_kind:     hidden_remainder_z
      - .offset:         56
        .size:           8
        .value_kind:     hidden_global_offset_x
      - .offset:         64
        .size:           8
        .value_kind:     hidden_global_offset_y
      - .offset:         72
        .size:           8
        .value_kind:     hidden_global_offset_z
      - .offset:         80
        .size:           2
        .value_kind:     hidden_grid_dims
    .group_segment_fixed_size: 4112
    .kernarg_segment_align: 8
    .kernarg_segment_size: 272
    .language:       OpenCL C
    .language_version:
      - 2
      - 0
    .max_flat_workgroup_size: 128
    .name:           _Z15sort_key_kernelILj128ELj4ELb0ELb0EN10test_utils16custom_test_typeIsEEEvPT3_jj
    .private_segment_fixed_size: 0
    .sgpr_count:     34
    .sgpr_spill_count: 0
    .symbol:         _Z15sort_key_kernelILj128ELj4ELb0ELb0EN10test_utils16custom_test_typeIsEEEvPT3_jj.kd
    .uniform_work_group_size: 1
    .uses_dynamic_stack: false
    .vgpr_count:     59
    .vgpr_spill_count: 0
    .wavefront_size: 32
    .workgroup_processor_mode: 1
  - .args:
      - .address_space:  global
        .offset:         0
        .size:           8
        .value_kind:     global_buffer
      - .offset:         8
        .size:           4
        .value_kind:     by_value
      - .offset:         12
        .size:           4
        .value_kind:     by_value
    .group_segment_fixed_size: 1936
    .kernarg_segment_align: 8
    .kernarg_segment_size: 16
    .language:       OpenCL C
    .language_version:
      - 2
      - 0
    .max_flat_workgroup_size: 60
    .name:           _Z15sort_key_kernelILj60ELj1ELb0ELb1EtEvPT3_jj
    .private_segment_fixed_size: 0
    .sgpr_count:     24
    .sgpr_spill_count: 0
    .symbol:         _Z15sort_key_kernelILj60ELj1ELb0ELb1EtEvPT3_jj.kd
    .uniform_work_group_size: 1
    .uses_dynamic_stack: false
    .vgpr_count:     25
    .vgpr_spill_count: 0
    .wavefront_size: 32
    .workgroup_processor_mode: 1
  - .args:
      - .address_space:  global
        .offset:         0
        .size:           8
        .value_kind:     global_buffer
      - .offset:         8
        .size:           4
        .value_kind:     by_value
      - .offset:         12
        .size:           4
        .value_kind:     by_value
      - .offset:         16
        .size:           4
        .value_kind:     hidden_block_count_x
      - .offset:         20
        .size:           4
        .value_kind:     hidden_block_count_y
      - .offset:         24
        .size:           4
        .value_kind:     hidden_block_count_z
      - .offset:         28
        .size:           2
        .value_kind:     hidden_group_size_x
      - .offset:         30
        .size:           2
        .value_kind:     hidden_group_size_y
      - .offset:         32
        .size:           2
        .value_kind:     hidden_group_size_z
      - .offset:         34
        .size:           2
        .value_kind:     hidden_remainder_x
      - .offset:         36
        .size:           2
        .value_kind:     hidden_remainder_y
      - .offset:         38
        .size:           2
        .value_kind:     hidden_remainder_z
      - .offset:         56
        .size:           8
        .value_kind:     hidden_global_offset_x
      - .offset:         64
        .size:           8
        .value_kind:     hidden_global_offset_y
      - .offset:         72
        .size:           8
        .value_kind:     hidden_global_offset_z
      - .offset:         80
        .size:           2
        .value_kind:     hidden_grid_dims
    .group_segment_fixed_size: 16448
    .kernarg_segment_align: 8
    .kernarg_segment_size: 272
    .language:       OpenCL C
    .language_version:
      - 2
      - 0
    .max_flat_workgroup_size: 512
    .name:           _Z15sort_key_kernelILj512ELj2ELb1ELb0EhEvPT3_jj
    .private_segment_fixed_size: 0
    .sgpr_count:     23
    .sgpr_spill_count: 0
    .symbol:         _Z15sort_key_kernelILj512ELj2ELb1ELb0EhEvPT3_jj.kd
    .uniform_work_group_size: 1
    .uses_dynamic_stack: false
    .vgpr_count:     41
    .vgpr_spill_count: 0
    .wavefront_size: 32
    .workgroup_processor_mode: 1
  - .args:
      - .address_space:  global
        .offset:         0
        .size:           8
        .value_kind:     global_buffer
      - .offset:         8
        .size:           4
        .value_kind:     by_value
      - .offset:         12
        .size:           4
        .value_kind:     by_value
    .group_segment_fixed_size: 5216
    .kernarg_segment_align: 8
    .kernarg_segment_size: 16
    .language:       OpenCL C
    .language_version:
      - 2
      - 0
    .max_flat_workgroup_size: 162
    .name:           _Z15sort_key_kernelILj162ELj2ELb1ELb1EjEvPT3_jj
    .private_segment_fixed_size: 0
    .sgpr_count:     26
    .sgpr_spill_count: 0
    .symbol:         _Z15sort_key_kernelILj162ELj2ELb1ELb1EjEvPT3_jj.kd
    .uniform_work_group_size: 1
    .uses_dynamic_stack: false
    .vgpr_count:     26
    .vgpr_spill_count: 0
    .wavefront_size: 32
    .workgroup_processor_mode: 1
  - .args:
      - .address_space:  global
        .offset:         0
        .size:           8
        .value_kind:     global_buffer
      - .offset:         8
        .size:           4
        .value_kind:     by_value
      - .offset:         12
        .size:           4
        .value_kind:     by_value
    .group_segment_fixed_size: 3280
    .kernarg_segment_align: 8
    .kernarg_segment_size: 16
    .language:       OpenCL C
    .language_version:
      - 2
      - 0
    .max_flat_workgroup_size: 102
    .name:           _Z15sort_key_kernelILj102ELj3ELb0ELb1EtEvPT3_jj
    .private_segment_fixed_size: 0
    .sgpr_count:     26
    .sgpr_spill_count: 0
    .symbol:         _Z15sort_key_kernelILj102ELj3ELb0ELb1EtEvPT3_jj.kd
    .uniform_work_group_size: 1
    .uses_dynamic_stack: false
    .vgpr_count:     32
    .vgpr_spill_count: 0
    .wavefront_size: 32
    .workgroup_processor_mode: 1
  - .args:
      - .address_space:  global
        .offset:         0
        .size:           8
        .value_kind:     global_buffer
      - .offset:         8
        .size:           4
        .value_kind:     by_value
      - .offset:         12
        .size:           4
        .value_kind:     by_value
      - .offset:         16
        .size:           4
        .value_kind:     hidden_block_count_x
      - .offset:         20
        .size:           4
        .value_kind:     hidden_block_count_y
      - .offset:         24
        .size:           4
        .value_kind:     hidden_block_count_z
      - .offset:         28
        .size:           2
        .value_kind:     hidden_group_size_x
      - .offset:         30
        .size:           2
        .value_kind:     hidden_group_size_y
      - .offset:         32
        .size:           2
        .value_kind:     hidden_group_size_z
      - .offset:         34
        .size:           2
        .value_kind:     hidden_remainder_x
      - .offset:         36
        .size:           2
        .value_kind:     hidden_remainder_y
      - .offset:         38
        .size:           2
        .value_kind:     hidden_remainder_z
      - .offset:         56
        .size:           8
        .value_kind:     hidden_global_offset_x
      - .offset:         64
        .size:           8
        .value_kind:     hidden_global_offset_y
      - .offset:         72
        .size:           8
        .value_kind:     hidden_global_offset_z
      - .offset:         80
        .size:           2
        .value_kind:     hidden_grid_dims
    .group_segment_fixed_size: 2064
    .kernarg_segment_align: 8
    .kernarg_segment_size: 272
    .language:       OpenCL C
    .language_version:
      - 2
      - 0
    .max_flat_workgroup_size: 64
    .name:           _Z15sort_key_kernelILj64ELj1ELb0ELb0EyEvPT3_jj
    .private_segment_fixed_size: 0
    .sgpr_count:     22
    .sgpr_spill_count: 0
    .symbol:         _Z15sort_key_kernelILj64ELj1ELb0ELb0EyEvPT3_jj.kd
    .uniform_work_group_size: 1
    .uses_dynamic_stack: false
    .vgpr_count:     31
    .vgpr_spill_count: 0
    .wavefront_size: 32
    .workgroup_processor_mode: 1
  - .args:
      - .address_space:  global
        .offset:         0
        .size:           8
        .value_kind:     global_buffer
      - .offset:         8
        .size:           4
        .value_kind:     by_value
      - .offset:         12
        .size:           4
        .value_kind:     by_value
    .group_segment_fixed_size: 7520
    .kernarg_segment_align: 8
    .kernarg_segment_size: 16
    .language:       OpenCL C
    .language_version:
      - 2
      - 0
    .max_flat_workgroup_size: 234
    .name:           _Z15sort_key_kernelILj234ELj9ELb0ELb0EsEvPT3_jj
    .private_segment_fixed_size: 0
    .sgpr_count:     22
    .sgpr_spill_count: 0
    .symbol:         _Z15sort_key_kernelILj234ELj9ELb0ELb0EsEvPT3_jj.kd
    .uniform_work_group_size: 1
    .uses_dynamic_stack: false
    .vgpr_count:     55
    .vgpr_spill_count: 0
    .wavefront_size: 32
    .workgroup_processor_mode: 1
  - .args:
      - .address_space:  global
        .offset:         0
        .size:           8
        .value_kind:     global_buffer
      - .offset:         8
        .size:           4
        .value_kind:     by_value
      - .offset:         12
        .size:           4
        .value_kind:     by_value
    .group_segment_fixed_size: 3216
    .kernarg_segment_align: 8
    .kernarg_segment_size: 16
    .language:       OpenCL C
    .language_version:
      - 2
      - 0
    .max_flat_workgroup_size: 100
    .name:           _Z15sort_key_kernelILj100ELj3ELb0ELb0EtEvPT3_jj
    .private_segment_fixed_size: 0
    .sgpr_count:     26
    .sgpr_spill_count: 0
    .symbol:         _Z15sort_key_kernelILj100ELj3ELb0ELb0EtEvPT3_jj.kd
    .uniform_work_group_size: 1
    .uses_dynamic_stack: false
    .vgpr_count:     32
    .vgpr_spill_count: 0
    .wavefront_size: 32
    .workgroup_processor_mode: 1
  - .args:
      - .address_space:  global
        .offset:         0
        .size:           8
        .value_kind:     global_buffer
      - .offset:         8
        .size:           4
        .value_kind:     by_value
      - .offset:         12
        .size:           4
        .value_kind:     by_value
    .group_segment_fixed_size: 14912
    .kernarg_segment_align: 8
    .kernarg_segment_size: 16
    .language:       OpenCL C
    .language_version:
      - 2
      - 0
    .max_flat_workgroup_size: 464
    .name:           _Z15sort_key_kernelILj464ELj2ELb1ELb1EcEvPT3_jj
    .private_segment_fixed_size: 0
    .sgpr_count:     22
    .sgpr_spill_count: 0
    .symbol:         _Z15sort_key_kernelILj464ELj2ELb1ELb1EcEvPT3_jj.kd
    .uniform_work_group_size: 1
    .uses_dynamic_stack: false
    .vgpr_count:     30
    .vgpr_spill_count: 0
    .wavefront_size: 32
    .workgroup_processor_mode: 1
  - .args:
      - .address_space:  global
        .offset:         0
        .size:           8
        .value_kind:     global_buffer
      - .offset:         8
        .size:           4
        .value_kind:     by_value
      - .offset:         12
        .size:           4
        .value_kind:     by_value
    .group_segment_fixed_size: 1328
    .kernarg_segment_align: 8
    .kernarg_segment_size: 16
    .language:       OpenCL C
    .language_version:
      - 2
      - 0
    .max_flat_workgroup_size: 33
    .name:           _Z15sort_key_kernelILj33ELj5ELb0ELb0EdEvPT3_jj
    .private_segment_fixed_size: 0
    .sgpr_count:     26
    .sgpr_spill_count: 0
    .symbol:         _Z15sort_key_kernelILj33ELj5ELb0ELb0EdEvPT3_jj.kd
    .uniform_work_group_size: 1
    .uses_dynamic_stack: false
    .vgpr_count:     50
    .vgpr_spill_count: 0
    .wavefront_size: 32
    .workgroup_processor_mode: 1
  - .args:
      - .address_space:  global
        .offset:         0
        .size:           8
        .value_kind:     global_buffer
      - .offset:         8
        .size:           4
        .value_kind:     by_value
      - .offset:         12
        .size:           4
        .value_kind:     by_value
      - .offset:         16
        .size:           4
        .value_kind:     hidden_block_count_x
      - .offset:         20
        .size:           4
        .value_kind:     hidden_block_count_y
      - .offset:         24
        .size:           4
        .value_kind:     hidden_block_count_z
      - .offset:         28
        .size:           2
        .value_kind:     hidden_group_size_x
      - .offset:         30
        .size:           2
        .value_kind:     hidden_group_size_y
      - .offset:         32
        .size:           2
        .value_kind:     hidden_group_size_z
      - .offset:         34
        .size:           2
        .value_kind:     hidden_remainder_x
      - .offset:         36
        .size:           2
        .value_kind:     hidden_remainder_y
      - .offset:         38
        .size:           2
        .value_kind:     hidden_remainder_z
      - .offset:         56
        .size:           8
        .value_kind:     hidden_global_offset_x
      - .offset:         64
        .size:           8
        .value_kind:     hidden_global_offset_y
      - .offset:         72
        .size:           8
        .value_kind:     hidden_global_offset_z
      - .offset:         80
        .size:           2
        .value_kind:     hidden_grid_dims
    .group_segment_fixed_size: 8224
    .kernarg_segment_align: 8
    .kernarg_segment_size: 272
    .language:       OpenCL C
    .language_version:
      - 2
      - 0
    .max_flat_workgroup_size: 256
    .name:           _Z15sort_key_kernelILj256ELj7ELb0ELb0EtEvPT3_jj
    .private_segment_fixed_size: 0
    .sgpr_count:     24
    .sgpr_spill_count: 0
    .symbol:         _Z15sort_key_kernelILj256ELj7ELb0ELb0EtEvPT3_jj.kd
    .uniform_work_group_size: 1
    .uses_dynamic_stack: false
    .vgpr_count:     63
    .vgpr_spill_count: 0
    .wavefront_size: 32
    .workgroup_processor_mode: 1
  - .args:
      - .address_space:  global
        .offset:         0
        .size:           8
        .value_kind:     global_buffer
      - .offset:         8
        .size:           4
        .value_kind:     by_value
      - .offset:         12
        .size:           4
        .value_kind:     by_value
      - .offset:         16
        .size:           4
        .value_kind:     hidden_block_count_x
      - .offset:         20
        .size:           4
        .value_kind:     hidden_block_count_y
      - .offset:         24
        .size:           4
        .value_kind:     hidden_block_count_z
      - .offset:         28
        .size:           2
        .value_kind:     hidden_group_size_x
      - .offset:         30
        .size:           2
        .value_kind:     hidden_group_size_y
      - .offset:         32
        .size:           2
        .value_kind:     hidden_group_size_z
      - .offset:         34
        .size:           2
        .value_kind:     hidden_remainder_x
      - .offset:         36
        .size:           2
        .value_kind:     hidden_remainder_y
      - .offset:         38
        .size:           2
        .value_kind:     hidden_remainder_z
      - .offset:         56
        .size:           8
        .value_kind:     hidden_global_offset_x
      - .offset:         64
        .size:           8
        .value_kind:     hidden_global_offset_y
      - .offset:         72
        .size:           8
        .value_kind:     hidden_global_offset_z
      - .offset:         80
        .size:           2
        .value_kind:     hidden_grid_dims
    .group_segment_fixed_size: 4112
    .kernarg_segment_align: 8
    .kernarg_segment_size: 272
    .language:       OpenCL C
    .language_version:
      - 2
      - 0
    .max_flat_workgroup_size: 128
    .name:           _Z15sort_key_kernelILj128ELj4ELb0ELb0EiEvPT3_jj
    .private_segment_fixed_size: 0
    .sgpr_count:     26
    .sgpr_spill_count: 0
    .symbol:         _Z15sort_key_kernelILj128ELj4ELb0ELb0EiEvPT3_jj.kd
    .uniform_work_group_size: 1
    .uses_dynamic_stack: false
    .vgpr_count:     59
    .vgpr_spill_count: 0
    .wavefront_size: 32
    .workgroup_processor_mode: 1
  - .args:
      - .address_space:  global
        .offset:         0
        .size:           8
        .value_kind:     global_buffer
      - .offset:         8
        .size:           4
        .value_kind:     by_value
      - .offset:         12
        .size:           4
        .value_kind:     by_value
      - .offset:         16
        .size:           4
        .value_kind:     hidden_block_count_x
      - .offset:         20
        .size:           4
        .value_kind:     hidden_block_count_y
      - .offset:         24
        .size:           4
        .value_kind:     hidden_block_count_z
      - .offset:         28
        .size:           2
        .value_kind:     hidden_group_size_x
      - .offset:         30
        .size:           2
        .value_kind:     hidden_group_size_y
      - .offset:         32
        .size:           2
        .value_kind:     hidden_group_size_z
      - .offset:         34
        .size:           2
        .value_kind:     hidden_remainder_x
      - .offset:         36
        .size:           2
        .value_kind:     hidden_remainder_y
      - .offset:         38
        .size:           2
        .value_kind:     hidden_remainder_z
      - .offset:         56
        .size:           8
        .value_kind:     hidden_global_offset_x
      - .offset:         64
        .size:           8
        .value_kind:     hidden_global_offset_y
      - .offset:         72
        .size:           8
        .value_kind:     hidden_global_offset_z
      - .offset:         80
        .size:           2
        .value_kind:     hidden_grid_dims
    .group_segment_fixed_size: 2064
    .kernarg_segment_align: 8
    .kernarg_segment_size: 272
    .language:       OpenCL C
    .language_version:
      - 2
      - 0
    .max_flat_workgroup_size: 64
    .name:           _Z15sort_key_kernelILj64ELj2ELb0ELb1EfEvPT3_jj
    .private_segment_fixed_size: 0
    .sgpr_count:     24
    .sgpr_spill_count: 0
    .symbol:         _Z15sort_key_kernelILj64ELj2ELb0ELb1EfEvPT3_jj.kd
    .uniform_work_group_size: 1
    .uses_dynamic_stack: false
    .vgpr_count:     47
    .vgpr_spill_count: 0
    .wavefront_size: 32
    .workgroup_processor_mode: 1
  - .args:
      - .address_space:  global
        .offset:         0
        .size:           8
        .value_kind:     global_buffer
      - .offset:         8
        .size:           4
        .value_kind:     by_value
      - .offset:         12
        .size:           4
        .value_kind:     by_value
    .group_segment_fixed_size: 8192
    .kernarg_segment_align: 8
    .kernarg_segment_size: 16
    .language:       OpenCL C
    .language_version:
      - 2
      - 0
    .max_flat_workgroup_size: 255
    .name:           _Z15sort_key_kernelILj255ELj1ELb0ELb0EhEvPT3_jj
    .private_segment_fixed_size: 0
    .sgpr_count:     24
    .sgpr_spill_count: 0
    .symbol:         _Z15sort_key_kernelILj255ELj1ELb0ELb0EhEvPT3_jj.kd
    .uniform_work_group_size: 1
    .uses_dynamic_stack: false
    .vgpr_count:     24
    .vgpr_spill_count: 0
    .wavefront_size: 32
    .workgroup_processor_mode: 1
  - .args:
      - .address_space:  global
        .offset:         0
        .size:           8
        .value_kind:     global_buffer
      - .offset:         8
        .size:           4
        .value_kind:     by_value
      - .offset:         12
        .size:           4
        .value_kind:     by_value
    .group_segment_fixed_size: 5216
    .kernarg_segment_align: 8
    .kernarg_segment_size: 16
    .language:       OpenCL C
    .language_version:
      - 2
      - 0
    .max_flat_workgroup_size: 162
    .name:           _Z15sort_key_kernelILj162ELj1ELb1ELb0EjEvPT3_jj
    .private_segment_fixed_size: 0
    .sgpr_count:     24
    .sgpr_spill_count: 0
    .symbol:         _Z15sort_key_kernelILj162ELj1ELb1ELb0EjEvPT3_jj.kd
    .uniform_work_group_size: 1
    .uses_dynamic_stack: false
    .vgpr_count:     23
    .vgpr_spill_count: 0
    .wavefront_size: 32
    .workgroup_processor_mode: 1
  - .args:
      - .address_space:  global
        .offset:         0
        .size:           8
        .value_kind:     global_buffer
      - .offset:         8
        .size:           4
        .value_kind:     by_value
      - .offset:         12
        .size:           4
        .value_kind:     by_value
    .group_segment_fixed_size: 16384
    .kernarg_segment_align: 8
    .kernarg_segment_size: 16
    .language:       OpenCL C
    .language_version:
      - 2
      - 0
    .max_flat_workgroup_size: 510
    .name:           _Z15sort_key_kernelILj510ELj1ELb0ELb1ExEvPT3_jj
    .private_segment_fixed_size: 0
    .sgpr_count:     22
    .sgpr_spill_count: 0
    .symbol:         _Z15sort_key_kernelILj510ELj1ELb0ELb1ExEvPT3_jj.kd
    .uniform_work_group_size: 1
    .uses_dynamic_stack: false
    .vgpr_count:     26
    .vgpr_spill_count: 0
    .wavefront_size: 32
    .workgroup_processor_mode: 1
  - .args:
      - .address_space:  global
        .offset:         0
        .size:           8
        .value_kind:     global_buffer
      - .offset:         8
        .size:           4
        .value_kind:     by_value
      - .offset:         12
        .size:           4
        .value_kind:     by_value
    .group_segment_fixed_size: 1200
    .kernarg_segment_align: 8
    .kernarg_segment_size: 16
    .language:       OpenCL C
    .language_version:
      - 2
      - 0
    .max_flat_workgroup_size: 37
    .name:           _Z15sort_key_kernelILj37ELj1ELb0ELb0E6__halfEvPT3_jj
    .private_segment_fixed_size: 0
    .sgpr_count:     24
    .sgpr_spill_count: 0
    .symbol:         _Z15sort_key_kernelILj37ELj1ELb0ELb0E6__halfEvPT3_jj.kd
    .uniform_work_group_size: 1
    .uses_dynamic_stack: false
    .vgpr_count:     25
    .vgpr_spill_count: 0
    .wavefront_size: 32
    .workgroup_processor_mode: 1
  - .args:
      - .address_space:  global
        .offset:         0
        .size:           8
        .value_kind:     global_buffer
      - .offset:         8
        .size:           4
        .value_kind:     by_value
      - .offset:         12
        .size:           4
        .value_kind:     by_value
    .group_segment_fixed_size: 1200
    .kernarg_segment_align: 8
    .kernarg_segment_size: 16
    .language:       OpenCL C
    .language_version:
      - 2
      - 0
    .max_flat_workgroup_size: 37
    .name:           _Z15sort_key_kernelILj37ELj1ELb0ELb0E12hip_bfloat16EvPT3_jj
    .private_segment_fixed_size: 0
    .sgpr_count:     24
    .sgpr_spill_count: 0
    .symbol:         _Z15sort_key_kernelILj37ELj1ELb0ELb0E12hip_bfloat16EvPT3_jj.kd
    .uniform_work_group_size: 1
    .uses_dynamic_stack: false
    .vgpr_count:     25
    .vgpr_spill_count: 0
    .wavefront_size: 32
    .workgroup_processor_mode: 1
  - .args:
      - .address_space:  global
        .offset:         0
        .size:           8
        .value_kind:     global_buffer
      - .offset:         8
        .size:           4
        .value_kind:     by_value
      - .offset:         12
        .size:           4
        .value_kind:     by_value
    .group_segment_fixed_size: 1200
    .kernarg_segment_align: 8
    .kernarg_segment_size: 16
    .language:       OpenCL C
    .language_version:
      - 2
      - 0
    .max_flat_workgroup_size: 37
    .name:           _Z15sort_key_kernelILj37ELj1ELb0ELb0EfEvPT3_jj
    .private_segment_fixed_size: 0
    .sgpr_count:     24
    .sgpr_spill_count: 0
    .symbol:         _Z15sort_key_kernelILj37ELj1ELb0ELb0EfEvPT3_jj.kd
    .uniform_work_group_size: 1
    .uses_dynamic_stack: false
    .vgpr_count:     23
    .vgpr_spill_count: 0
    .wavefront_size: 32
    .workgroup_processor_mode: 1
  - .args:
      - .address_space:  global
        .offset:         0
        .size:           8
        .value_kind:     global_buffer
      - .offset:         8
        .size:           4
        .value_kind:     by_value
      - .offset:         12
        .size:           4
        .value_kind:     by_value
    .group_segment_fixed_size: 2096
    .kernarg_segment_align: 8
    .kernarg_segment_size: 16
    .language:       OpenCL C
    .language_version:
      - 2
      - 0
    .max_flat_workgroup_size: 65
    .name:           _Z15sort_key_kernelILj65ELj1ELb0ELb0EdEvPT3_jj
    .private_segment_fixed_size: 0
    .sgpr_count:     27
    .sgpr_spill_count: 0
    .symbol:         _Z15sort_key_kernelILj65ELj1ELb0ELb0EdEvPT3_jj.kd
    .uniform_work_group_size: 1
    .uses_dynamic_stack: false
    .vgpr_count:     26
    .vgpr_spill_count: 0
    .wavefront_size: 32
    .workgroup_processor_mode: 1
  - .args:
      - .address_space:  global
        .offset:         0
        .size:           8
        .value_kind:     global_buffer
      - .offset:         8
        .size:           4
        .value_kind:     by_value
      - .offset:         12
        .size:           4
        .value_kind:     by_value
      - .offset:         16
        .size:           4
        .value_kind:     hidden_block_count_x
      - .offset:         20
        .size:           4
        .value_kind:     hidden_block_count_y
      - .offset:         24
        .size:           4
        .value_kind:     hidden_block_count_z
      - .offset:         28
        .size:           2
        .value_kind:     hidden_group_size_x
      - .offset:         30
        .size:           2
        .value_kind:     hidden_group_size_y
      - .offset:         32
        .size:           2
        .value_kind:     hidden_group_size_z
      - .offset:         34
        .size:           2
        .value_kind:     hidden_remainder_x
      - .offset:         36
        .size:           2
        .value_kind:     hidden_remainder_y
      - .offset:         38
        .size:           2
        .value_kind:     hidden_remainder_z
      - .offset:         56
        .size:           8
        .value_kind:     hidden_global_offset_x
      - .offset:         64
        .size:           8
        .value_kind:     hidden_global_offset_y
      - .offset:         72
        .size:           8
        .value_kind:     hidden_global_offset_z
      - .offset:         80
        .size:           2
        .value_kind:     hidden_grid_dims
    .group_segment_fixed_size: 32896
    .kernarg_segment_align: 8
    .kernarg_segment_size: 272
    .language:       OpenCL C
    .language_version:
      - 2
      - 0
    .max_flat_workgroup_size: 1024
    .name:           _Z15sort_key_kernelILj1024ELj1ELb0ELb1EtEvPT3_jj
    .private_segment_fixed_size: 0
    .sgpr_count:     22
    .sgpr_spill_count: 0
    .symbol:         _Z15sort_key_kernelILj1024ELj1ELb0ELb1EtEvPT3_jj.kd
    .uniform_work_group_size: 1
    .uses_dynamic_stack: false
    .vgpr_count:     29
    .vgpr_spill_count: 0
    .wavefront_size: 32
    .workgroup_processor_mode: 1
  - .args:
      - .address_space:  global
        .offset:         0
        .size:           8
        .value_kind:     global_buffer
      - .offset:         8
        .size:           4
        .value_kind:     by_value
      - .offset:         12
        .size:           4
        .value_kind:     by_value
      - .offset:         16
        .size:           4
        .value_kind:     hidden_block_count_x
      - .offset:         20
        .size:           4
        .value_kind:     hidden_block_count_y
      - .offset:         24
        .size:           4
        .value_kind:     hidden_block_count_z
      - .offset:         28
        .size:           2
        .value_kind:     hidden_group_size_x
      - .offset:         30
        .size:           2
        .value_kind:     hidden_group_size_y
      - .offset:         32
        .size:           2
        .value_kind:     hidden_group_size_z
      - .offset:         34
        .size:           2
        .value_kind:     hidden_remainder_x
      - .offset:         36
        .size:           2
        .value_kind:     hidden_remainder_y
      - .offset:         38
        .size:           2
        .value_kind:     hidden_remainder_z
      - .offset:         56
        .size:           8
        .value_kind:     hidden_global_offset_x
      - .offset:         64
        .size:           8
        .value_kind:     hidden_global_offset_y
      - .offset:         72
        .size:           8
        .value_kind:     hidden_global_offset_z
      - .offset:         80
        .size:           2
        .value_kind:     hidden_grid_dims
    .group_segment_fixed_size: 8224
    .kernarg_segment_align: 8
    .kernarg_segment_size: 272
    .language:       OpenCL C
    .language_version:
      - 2
      - 0
    .max_flat_workgroup_size: 256
    .name:           _Z15sort_key_kernelILj256ELj1ELb0ELb0EjEvPT3_jj
    .private_segment_fixed_size: 0
    .sgpr_count:     22
    .sgpr_spill_count: 0
    .symbol:         _Z15sort_key_kernelILj256ELj1ELb0ELb0EjEvPT3_jj.kd
    .uniform_work_group_size: 1
    .uses_dynamic_stack: false
    .vgpr_count:     28
    .vgpr_spill_count: 0
    .wavefront_size: 32
    .workgroup_processor_mode: 1
  - .args:
      - .address_space:  global
        .offset:         0
        .size:           8
        .value_kind:     global_buffer
      - .offset:         8
        .size:           4
        .value_kind:     by_value
      - .offset:         12
        .size:           4
        .value_kind:     by_value
      - .offset:         16
        .size:           4
        .value_kind:     hidden_block_count_x
      - .offset:         20
        .size:           4
        .value_kind:     hidden_block_count_y
      - .offset:         24
        .size:           4
        .value_kind:     hidden_block_count_z
      - .offset:         28
        .size:           2
        .value_kind:     hidden_group_size_x
      - .offset:         30
        .size:           2
        .value_kind:     hidden_group_size_y
      - .offset:         32
        .size:           2
        .value_kind:     hidden_group_size_z
      - .offset:         34
        .size:           2
        .value_kind:     hidden_remainder_x
      - .offset:         36
        .size:           2
        .value_kind:     hidden_remainder_y
      - .offset:         38
        .size:           2
        .value_kind:     hidden_remainder_z
      - .offset:         56
        .size:           8
        .value_kind:     hidden_global_offset_x
      - .offset:         64
        .size:           8
        .value_kind:     hidden_global_offset_y
      - .offset:         72
        .size:           8
        .value_kind:     hidden_global_offset_z
      - .offset:         80
        .size:           2
        .value_kind:     hidden_grid_dims
    .group_segment_fixed_size: 4112
    .kernarg_segment_align: 8
    .kernarg_segment_size: 272
    .language:       OpenCL C
    .language_version:
      - 2
      - 0
    .max_flat_workgroup_size: 128
    .name:           _Z15sort_key_kernelILj128ELj1ELb0ELb0EiEvPT3_jj
    .private_segment_fixed_size: 0
    .sgpr_count:     22
    .sgpr_spill_count: 0
    .symbol:         _Z15sort_key_kernelILj128ELj1ELb0ELb0EiEvPT3_jj.kd
    .uniform_work_group_size: 1
    .uses_dynamic_stack: false
    .vgpr_count:     29
    .vgpr_spill_count: 0
    .wavefront_size: 32
    .workgroup_processor_mode: 1
  - .args:
      - .address_space:  global
        .offset:         0
        .size:           8
        .value_kind:     global_buffer
      - .offset:         8
        .size:           4
        .value_kind:     by_value
      - .offset:         12
        .size:           4
        .value_kind:     by_value
      - .offset:         16
        .size:           4
        .value_kind:     hidden_block_count_x
      - .offset:         20
        .size:           4
        .value_kind:     hidden_block_count_y
      - .offset:         24
        .size:           4
        .value_kind:     hidden_block_count_z
      - .offset:         28
        .size:           2
        .value_kind:     hidden_group_size_x
      - .offset:         30
        .size:           2
        .value_kind:     hidden_group_size_y
      - .offset:         32
        .size:           2
        .value_kind:     hidden_group_size_z
      - .offset:         34
        .size:           2
        .value_kind:     hidden_remainder_x
      - .offset:         36
        .size:           2
        .value_kind:     hidden_remainder_y
      - .offset:         38
        .size:           2
        .value_kind:     hidden_remainder_z
      - .offset:         56
        .size:           8
        .value_kind:     hidden_global_offset_x
      - .offset:         64
        .size:           8
        .value_kind:     hidden_global_offset_y
      - .offset:         72
        .size:           8
        .value_kind:     hidden_global_offset_z
      - .offset:         80
        .size:           2
        .value_kind:     hidden_grid_dims
    .group_segment_fixed_size: 2064
    .kernarg_segment_align: 8
    .kernarg_segment_size: 272
    .language:       OpenCL C
    .language_version:
      - 2
      - 0
    .max_flat_workgroup_size: 64
    .name:           _Z15sort_key_kernelILj64ELj1ELb0ELb0EjEvPT3_jj
    .private_segment_fixed_size: 0
    .sgpr_count:     22
    .sgpr_spill_count: 0
    .symbol:         _Z15sort_key_kernelILj64ELj1ELb0ELb0EjEvPT3_jj.kd
    .uniform_work_group_size: 1
    .uses_dynamic_stack: false
    .vgpr_count:     28
    .vgpr_spill_count: 0
    .wavefront_size: 32
    .workgroup_processor_mode: 1
  - .args:
      - .address_space:  global
        .offset:         0
        .size:           8
        .value_kind:     global_buffer
      - .offset:         8
        .size:           4
        .value_kind:     by_value
      - .offset:         12
        .size:           4
        .value_kind:     by_value
      - .offset:         16
        .size:           4
        .value_kind:     hidden_block_count_x
      - .offset:         20
        .size:           4
        .value_kind:     hidden_block_count_y
      - .offset:         24
        .size:           4
        .value_kind:     hidden_block_count_z
      - .offset:         28
        .size:           2
        .value_kind:     hidden_group_size_x
      - .offset:         30
        .size:           2
        .value_kind:     hidden_group_size_y
      - .offset:         32
        .size:           2
        .value_kind:     hidden_group_size_z
      - .offset:         34
        .size:           2
        .value_kind:     hidden_remainder_x
      - .offset:         36
        .size:           2
        .value_kind:     hidden_remainder_y
      - .offset:         38
        .size:           2
        .value_kind:     hidden_remainder_z
      - .offset:         56
        .size:           8
        .value_kind:     hidden_global_offset_x
      - .offset:         64
        .size:           8
        .value_kind:     hidden_global_offset_y
      - .offset:         72
        .size:           8
        .value_kind:     hidden_global_offset_z
      - .offset:         80
        .size:           2
        .value_kind:     hidden_grid_dims
    .group_segment_fixed_size: 2064
    .kernarg_segment_align: 8
    .kernarg_segment_size: 272
    .language:       OpenCL C
    .language_version:
      - 2
      - 0
    .max_flat_workgroup_size: 64
    .name:           _Z15sort_key_kernelILj64ELj1ELb0ELb0EoEvPT3_jj
    .private_segment_fixed_size: 0
    .sgpr_count:     22
    .sgpr_spill_count: 0
    .symbol:         _Z15sort_key_kernelILj64ELj1ELb0ELb0EoEvPT3_jj.kd
    .uniform_work_group_size: 1
    .uses_dynamic_stack: false
    .vgpr_count:     35
    .vgpr_spill_count: 0
    .wavefront_size: 32
    .workgroup_processor_mode: 1
  - .args:
      - .address_space:  global
        .offset:         0
        .size:           8
        .value_kind:     global_buffer
      - .offset:         8
        .size:           4
        .value_kind:     by_value
      - .offset:         12
        .size:           4
        .value_kind:     by_value
      - .offset:         16
        .size:           4
        .value_kind:     hidden_block_count_x
      - .offset:         20
        .size:           4
        .value_kind:     hidden_block_count_y
      - .offset:         24
        .size:           4
        .value_kind:     hidden_block_count_z
      - .offset:         28
        .size:           2
        .value_kind:     hidden_group_size_x
      - .offset:         30
        .size:           2
        .value_kind:     hidden_group_size_y
      - .offset:         32
        .size:           2
        .value_kind:     hidden_group_size_z
      - .offset:         34
        .size:           2
        .value_kind:     hidden_remainder_x
      - .offset:         36
        .size:           2
        .value_kind:     hidden_remainder_y
      - .offset:         38
        .size:           2
        .value_kind:     hidden_remainder_z
      - .offset:         56
        .size:           8
        .value_kind:     hidden_global_offset_x
      - .offset:         64
        .size:           8
        .value_kind:     hidden_global_offset_y
      - .offset:         72
        .size:           8
        .value_kind:     hidden_global_offset_z
      - .offset:         80
        .size:           2
        .value_kind:     hidden_grid_dims
    .group_segment_fixed_size: 2064
    .kernarg_segment_align: 8
    .kernarg_segment_size: 272
    .language:       OpenCL C
    .language_version:
      - 2
      - 0
    .max_flat_workgroup_size: 64
    .name:           _Z15sort_key_kernelILj64ELj1ELb0ELb0EnEvPT3_jj
    .private_segment_fixed_size: 0
    .sgpr_count:     22
    .sgpr_spill_count: 0
    .symbol:         _Z15sort_key_kernelILj64ELj1ELb0ELb0EnEvPT3_jj.kd
    .uniform_work_group_size: 1
    .uses_dynamic_stack: false
    .vgpr_count:     35
    .vgpr_spill_count: 0
    .wavefront_size: 32
    .workgroup_processor_mode: 1
  - .args:
      - .address_space:  global
        .offset:         0
        .size:           8
        .value_kind:     global_buffer
      - .address_space:  global
        .offset:         8
        .size:           8
        .value_kind:     global_buffer
      - .offset:         16
        .size:           4
        .value_kind:     by_value
      - .offset:         20
        .size:           4
        .value_kind:     by_value
    .group_segment_fixed_size: 8192
    .kernarg_segment_align: 8
    .kernarg_segment_size: 24
    .language:       OpenCL C
    .language_version:
      - 2
      - 0
    .max_flat_workgroup_size: 255
    .name:           _Z21sort_key_value_kernelILj255ELj1ELb1ELb0EN10test_utils16custom_test_typeIhEEfEvPT3_PT4_jj
    .private_segment_fixed_size: 0
    .sgpr_count:     30
    .sgpr_spill_count: 0
    .symbol:         _Z21sort_key_value_kernelILj255ELj1ELb1ELb0EN10test_utils16custom_test_typeIhEEfEvPT3_PT4_jj.kd
    .uniform_work_group_size: 1
    .uses_dynamic_stack: false
    .vgpr_count:     30
    .vgpr_spill_count: 0
    .wavefront_size: 32
    .workgroup_processor_mode: 1
  - .args:
      - .address_space:  global
        .offset:         0
        .size:           8
        .value_kind:     global_buffer
      - .address_space:  global
        .offset:         8
        .size:           8
        .value_kind:     global_buffer
      - .offset:         16
        .size:           4
        .value_kind:     by_value
      - .offset:         20
        .size:           4
        .value_kind:     by_value
    .group_segment_fixed_size: 4160
    .kernarg_segment_align: 8
    .kernarg_segment_size: 24
    .language:       OpenCL C
    .language_version:
      - 2
      - 0
    .max_flat_workgroup_size: 129
    .name:           _Z21sort_key_value_kernelILj129ELj2ELb0ELb1EN10test_utils16custom_test_typeIfEEiEvPT3_PT4_jj
    .private_segment_fixed_size: 0
    .sgpr_count:     38
    .sgpr_spill_count: 0
    .symbol:         _Z21sort_key_value_kernelILj129ELj2ELb0ELb1EN10test_utils16custom_test_typeIfEEiEvPT3_PT4_jj.kd
    .uniform_work_group_size: 1
    .uses_dynamic_stack: false
    .vgpr_count:     37
    .vgpr_spill_count: 0
    .wavefront_size: 32
    .workgroup_processor_mode: 1
  - .args:
      - .address_space:  global
        .offset:         0
        .size:           8
        .value_kind:     global_buffer
      - .address_space:  global
        .offset:         8
        .size:           8
        .value_kind:     global_buffer
      - .offset:         16
        .size:           4
        .value_kind:     by_value
      - .offset:         20
        .size:           4
        .value_kind:     by_value
      - .offset:         24
        .size:           4
        .value_kind:     hidden_block_count_x
      - .offset:         28
        .size:           4
        .value_kind:     hidden_block_count_y
      - .offset:         32
        .size:           4
        .value_kind:     hidden_block_count_z
      - .offset:         36
        .size:           2
        .value_kind:     hidden_group_size_x
      - .offset:         38
        .size:           2
        .value_kind:     hidden_group_size_y
      - .offset:         40
        .size:           2
        .value_kind:     hidden_group_size_z
      - .offset:         42
        .size:           2
        .value_kind:     hidden_remainder_x
      - .offset:         44
        .size:           2
        .value_kind:     hidden_remainder_y
      - .offset:         46
        .size:           2
        .value_kind:     hidden_remainder_z
      - .offset:         64
        .size:           8
        .value_kind:     hidden_global_offset_x
      - .offset:         72
        .size:           8
        .value_kind:     hidden_global_offset_y
      - .offset:         80
        .size:           8
        .value_kind:     hidden_global_offset_z
      - .offset:         88
        .size:           2
        .value_kind:     hidden_grid_dims
    .group_segment_fixed_size: 4112
    .kernarg_segment_align: 8
    .kernarg_segment_size: 280
    .language:       OpenCL C
    .language_version:
      - 2
      - 0
    .max_flat_workgroup_size: 128
    .name:           _Z21sort_key_value_kernelILj128ELj4ELb0ELb0EN10test_utils16custom_test_typeIsEEiEvPT3_PT4_jj
    .private_segment_fixed_size: 0
    .sgpr_count:     39
    .sgpr_spill_count: 0
    .symbol:         _Z21sort_key_value_kernelILj128ELj4ELb0ELb0EN10test_utils16custom_test_typeIsEEiEvPT3_PT4_jj.kd
    .uniform_work_group_size: 1
    .uses_dynamic_stack: false
    .vgpr_count:     74
    .vgpr_spill_count: 0
    .wavefront_size: 32
    .workgroup_processor_mode: 1
  - .args:
      - .address_space:  global
        .offset:         0
        .size:           8
        .value_kind:     global_buffer
      - .address_space:  global
        .offset:         8
        .size:           8
        .value_kind:     global_buffer
      - .offset:         16
        .size:           4
        .value_kind:     by_value
      - .offset:         20
        .size:           4
        .value_kind:     by_value
    .group_segment_fixed_size: 1936
    .kernarg_segment_align: 8
    .kernarg_segment_size: 24
    .language:       OpenCL C
    .language_version:
      - 2
      - 0
    .max_flat_workgroup_size: 60
    .name:           _Z21sort_key_value_kernelILj60ELj1ELb0ELb1EtdEvPT3_PT4_jj
    .private_segment_fixed_size: 0
    .sgpr_count:     28
    .sgpr_spill_count: 0
    .symbol:         _Z21sort_key_value_kernelILj60ELj1ELb0ELb1EtdEvPT3_PT4_jj.kd
    .uniform_work_group_size: 1
    .uses_dynamic_stack: false
    .vgpr_count:     29
    .vgpr_spill_count: 0
    .wavefront_size: 32
    .workgroup_processor_mode: 1
  - .args:
      - .address_space:  global
        .offset:         0
        .size:           8
        .value_kind:     global_buffer
      - .address_space:  global
        .offset:         8
        .size:           8
        .value_kind:     global_buffer
      - .offset:         16
        .size:           4
        .value_kind:     by_value
      - .offset:         20
        .size:           4
        .value_kind:     by_value
      - .offset:         24
        .size:           4
        .value_kind:     hidden_block_count_x
      - .offset:         28
        .size:           4
        .value_kind:     hidden_block_count_y
      - .offset:         32
        .size:           4
        .value_kind:     hidden_block_count_z
      - .offset:         36
        .size:           2
        .value_kind:     hidden_group_size_x
      - .offset:         38
        .size:           2
        .value_kind:     hidden_group_size_y
      - .offset:         40
        .size:           2
        .value_kind:     hidden_group_size_z
      - .offset:         42
        .size:           2
        .value_kind:     hidden_remainder_x
      - .offset:         44
        .size:           2
        .value_kind:     hidden_remainder_y
      - .offset:         46
        .size:           2
        .value_kind:     hidden_remainder_z
      - .offset:         64
        .size:           8
        .value_kind:     hidden_global_offset_x
      - .offset:         72
        .size:           8
        .value_kind:     hidden_global_offset_y
      - .offset:         80
        .size:           8
        .value_kind:     hidden_global_offset_z
      - .offset:         88
        .size:           2
        .value_kind:     hidden_grid_dims
    .group_segment_fixed_size: 16448
    .kernarg_segment_align: 8
    .kernarg_segment_size: 280
    .language:       OpenCL C
    .language_version:
      - 2
      - 0
    .max_flat_workgroup_size: 512
    .name:           _Z21sort_key_value_kernelILj512ELj2ELb1ELb0EhiEvPT3_PT4_jj
    .private_segment_fixed_size: 0
    .sgpr_count:     25
    .sgpr_spill_count: 0
    .symbol:         _Z21sort_key_value_kernelILj512ELj2ELb1ELb0EhiEvPT3_PT4_jj.kd
    .uniform_work_group_size: 1
    .uses_dynamic_stack: false
    .vgpr_count:     46
    .vgpr_spill_count: 0
    .wavefront_size: 32
    .workgroup_processor_mode: 1
  - .args:
      - .address_space:  global
        .offset:         0
        .size:           8
        .value_kind:     global_buffer
      - .address_space:  global
        .offset:         8
        .size:           8
        .value_kind:     global_buffer
      - .offset:         16
        .size:           4
        .value_kind:     by_value
      - .offset:         20
        .size:           4
        .value_kind:     by_value
    .group_segment_fixed_size: 5216
    .kernarg_segment_align: 8
    .kernarg_segment_size: 24
    .language:       OpenCL C
    .language_version:
      - 2
      - 0
    .max_flat_workgroup_size: 162
    .name:           _Z21sort_key_value_kernelILj162ELj2ELb1ELb1EjsEvPT3_PT4_jj
    .private_segment_fixed_size: 0
    .sgpr_count:     28
    .sgpr_spill_count: 0
    .symbol:         _Z21sort_key_value_kernelILj162ELj2ELb1ELb1EjsEvPT3_PT4_jj.kd
    .uniform_work_group_size: 1
    .uses_dynamic_stack: false
    .vgpr_count:     29
    .vgpr_spill_count: 0
    .wavefront_size: 32
    .workgroup_processor_mode: 1
  - .args:
      - .address_space:  global
        .offset:         0
        .size:           8
        .value_kind:     global_buffer
      - .address_space:  global
        .offset:         8
        .size:           8
        .value_kind:     global_buffer
      - .offset:         16
        .size:           4
        .value_kind:     by_value
      - .offset:         20
        .size:           4
        .value_kind:     by_value
    .group_segment_fixed_size: 3280
    .kernarg_segment_align: 8
    .kernarg_segment_size: 24
    .language:       OpenCL C
    .language_version:
      - 2
      - 0
    .max_flat_workgroup_size: 102
    .name:           _Z21sort_key_value_kernelILj102ELj3ELb0ELb1EtiEvPT3_PT4_jj
    .private_segment_fixed_size: 0
    .sgpr_count:     29
    .sgpr_spill_count: 0
    .symbol:         _Z21sort_key_value_kernelILj102ELj3ELb0ELb1EtiEvPT3_PT4_jj.kd
    .uniform_work_group_size: 1
    .uses_dynamic_stack: false
    .vgpr_count:     38
    .vgpr_spill_count: 0
    .wavefront_size: 32
    .workgroup_processor_mode: 1
  - .args:
      - .address_space:  global
        .offset:         0
        .size:           8
        .value_kind:     global_buffer
      - .address_space:  global
        .offset:         8
        .size:           8
        .value_kind:     global_buffer
      - .offset:         16
        .size:           4
        .value_kind:     by_value
      - .offset:         20
        .size:           4
        .value_kind:     by_value
      - .offset:         24
        .size:           4
        .value_kind:     hidden_block_count_x
      - .offset:         28
        .size:           4
        .value_kind:     hidden_block_count_y
      - .offset:         32
        .size:           4
        .value_kind:     hidden_block_count_z
      - .offset:         36
        .size:           2
        .value_kind:     hidden_group_size_x
      - .offset:         38
        .size:           2
        .value_kind:     hidden_group_size_y
      - .offset:         40
        .size:           2
        .value_kind:     hidden_group_size_z
      - .offset:         42
        .size:           2
        .value_kind:     hidden_remainder_x
      - .offset:         44
        .size:           2
        .value_kind:     hidden_remainder_y
      - .offset:         46
        .size:           2
        .value_kind:     hidden_remainder_z
      - .offset:         64
        .size:           8
        .value_kind:     hidden_global_offset_x
      - .offset:         72
        .size:           8
        .value_kind:     hidden_global_offset_y
      - .offset:         80
        .size:           8
        .value_kind:     hidden_global_offset_z
      - .offset:         88
        .size:           2
        .value_kind:     hidden_grid_dims
    .group_segment_fixed_size: 2064
    .kernarg_segment_align: 8
    .kernarg_segment_size: 280
    .language:       OpenCL C
    .language_version:
      - 2
      - 0
    .max_flat_workgroup_size: 64
    .name:           _Z21sort_key_value_kernelILj64ELj1ELb0ELb0EycEvPT3_PT4_jj
    .private_segment_fixed_size: 0
    .sgpr_count:     24
    .sgpr_spill_count: 0
    .symbol:         _Z21sort_key_value_kernelILj64ELj1ELb0ELb0EycEvPT3_PT4_jj.kd
    .uniform_work_group_size: 1
    .uses_dynamic_stack: false
    .vgpr_count:     35
    .vgpr_spill_count: 0
    .wavefront_size: 32
    .workgroup_processor_mode: 1
  - .args:
      - .address_space:  global
        .offset:         0
        .size:           8
        .value_kind:     global_buffer
      - .address_space:  global
        .offset:         8
        .size:           8
        .value_kind:     global_buffer
      - .offset:         16
        .size:           4
        .value_kind:     by_value
      - .offset:         20
        .size:           4
        .value_kind:     by_value
    .group_segment_fixed_size: 8432
    .kernarg_segment_align: 8
    .kernarg_segment_size: 24
    .language:       OpenCL C
    .language_version:
      - 2
      - 0
    .max_flat_workgroup_size: 234
    .name:           _Z21sort_key_value_kernelILj234ELj9ELb0ELb0EsiEvPT3_PT4_jj
    .private_segment_fixed_size: 0
    .sgpr_count:     26
    .sgpr_spill_count: 0
    .symbol:         _Z21sort_key_value_kernelILj234ELj9ELb0ELb0EsiEvPT3_PT4_jj.kd
    .uniform_work_group_size: 1
    .uses_dynamic_stack: false
    .vgpr_count:     76
    .vgpr_spill_count: 0
    .wavefront_size: 32
    .workgroup_processor_mode: 1
  - .args:
      - .address_space:  global
        .offset:         0
        .size:           8
        .value_kind:     global_buffer
      - .address_space:  global
        .offset:         8
        .size:           8
        .value_kind:     global_buffer
      - .offset:         16
        .size:           4
        .value_kind:     by_value
      - .offset:         20
        .size:           4
        .value_kind:     by_value
    .group_segment_fixed_size: 3216
    .kernarg_segment_align: 8
    .kernarg_segment_size: 24
    .language:       OpenCL C
    .language_version:
      - 2
      - 0
    .max_flat_workgroup_size: 100
    .name:           _Z21sort_key_value_kernelILj100ELj3ELb0ELb0EtiEvPT3_PT4_jj
    .private_segment_fixed_size: 0
    .sgpr_count:     29
    .sgpr_spill_count: 0
    .symbol:         _Z21sort_key_value_kernelILj100ELj3ELb0ELb0EtiEvPT3_PT4_jj.kd
    .uniform_work_group_size: 1
    .uses_dynamic_stack: false
    .vgpr_count:     38
    .vgpr_spill_count: 0
    .wavefront_size: 32
    .workgroup_processor_mode: 1
  - .args:
      - .address_space:  global
        .offset:         0
        .size:           8
        .value_kind:     global_buffer
      - .address_space:  global
        .offset:         8
        .size:           8
        .value_kind:     global_buffer
      - .offset:         16
        .size:           4
        .value_kind:     by_value
      - .offset:         20
        .size:           4
        .value_kind:     by_value
    .group_segment_fixed_size: 14912
    .kernarg_segment_align: 8
    .kernarg_segment_size: 24
    .language:       OpenCL C
    .language_version:
      - 2
      - 0
    .max_flat_workgroup_size: 464
    .name:           _Z21sort_key_value_kernelILj464ELj2ELb1ELb1EcdEvPT3_PT4_jj
    .private_segment_fixed_size: 0
    .sgpr_count:     21
    .sgpr_spill_count: 0
    .symbol:         _Z21sort_key_value_kernelILj464ELj2ELb1ELb1EcdEvPT3_PT4_jj.kd
    .uniform_work_group_size: 1
    .uses_dynamic_stack: false
    .vgpr_count:     40
    .vgpr_spill_count: 0
    .wavefront_size: 32
    .workgroup_processor_mode: 1
  - .args:
      - .address_space:  global
        .offset:         0
        .size:           8
        .value_kind:     global_buffer
      - .address_space:  global
        .offset:         8
        .size:           8
        .value_kind:     global_buffer
      - .offset:         16
        .size:           4
        .value_kind:     by_value
      - .offset:         20
        .size:           4
        .value_kind:     by_value
    .group_segment_fixed_size: 1328
    .kernarg_segment_align: 8
    .kernarg_segment_size: 24
    .language:       OpenCL C
    .language_version:
      - 2
      - 0
    .max_flat_workgroup_size: 33
    .name:           _Z21sort_key_value_kernelILj33ELj5ELb0ELb0EdiEvPT3_PT4_jj
    .private_segment_fixed_size: 0
    .sgpr_count:     30
    .sgpr_spill_count: 0
    .symbol:         _Z21sort_key_value_kernelILj33ELj5ELb0ELb0EdiEvPT3_PT4_jj.kd
    .uniform_work_group_size: 1
    .uses_dynamic_stack: false
    .vgpr_count:     66
    .vgpr_spill_count: 0
    .wavefront_size: 32
    .workgroup_processor_mode: 1
  - .args:
      - .address_space:  global
        .offset:         0
        .size:           8
        .value_kind:     global_buffer
      - .address_space:  global
        .offset:         8
        .size:           8
        .value_kind:     global_buffer
      - .offset:         16
        .size:           4
        .value_kind:     by_value
      - .offset:         20
        .size:           4
        .value_kind:     by_value
      - .offset:         24
        .size:           4
        .value_kind:     hidden_block_count_x
      - .offset:         28
        .size:           4
        .value_kind:     hidden_block_count_y
      - .offset:         32
        .size:           4
        .value_kind:     hidden_block_count_z
      - .offset:         36
        .size:           2
        .value_kind:     hidden_group_size_x
      - .offset:         38
        .size:           2
        .value_kind:     hidden_group_size_y
      - .offset:         40
        .size:           2
        .value_kind:     hidden_group_size_z
      - .offset:         42
        .size:           2
        .value_kind:     hidden_remainder_x
      - .offset:         44
        .size:           2
        .value_kind:     hidden_remainder_y
      - .offset:         46
        .size:           2
        .value_kind:     hidden_remainder_z
      - .offset:         64
        .size:           8
        .value_kind:     hidden_global_offset_x
      - .offset:         72
        .size:           8
        .value_kind:     hidden_global_offset_y
      - .offset:         80
        .size:           8
        .value_kind:     hidden_global_offset_z
      - .offset:         88
        .size:           2
        .value_kind:     hidden_grid_dims
    .group_segment_fixed_size: 8224
    .kernarg_segment_align: 8
    .kernarg_segment_size: 280
    .language:       OpenCL C
    .language_version:
      - 2
      - 0
    .max_flat_workgroup_size: 256
    .name:           _Z21sort_key_value_kernelILj256ELj7ELb0ELb0EtcEvPT3_PT4_jj
    .private_segment_fixed_size: 0
    .sgpr_count:     28
    .sgpr_spill_count: 0
    .symbol:         _Z21sort_key_value_kernelILj256ELj7ELb0ELb0EtcEvPT3_PT4_jj.kd
    .uniform_work_group_size: 1
    .uses_dynamic_stack: false
    .vgpr_count:     76
    .vgpr_spill_count: 0
    .wavefront_size: 32
    .workgroup_processor_mode: 1
  - .args:
      - .address_space:  global
        .offset:         0
        .size:           8
        .value_kind:     global_buffer
      - .address_space:  global
        .offset:         8
        .size:           8
        .value_kind:     global_buffer
      - .offset:         16
        .size:           4
        .value_kind:     by_value
      - .offset:         20
        .size:           4
        .value_kind:     by_value
      - .offset:         24
        .size:           4
        .value_kind:     hidden_block_count_x
      - .offset:         28
        .size:           4
        .value_kind:     hidden_block_count_y
      - .offset:         32
        .size:           4
        .value_kind:     hidden_block_count_z
      - .offset:         36
        .size:           2
        .value_kind:     hidden_group_size_x
      - .offset:         38
        .size:           2
        .value_kind:     hidden_group_size_y
      - .offset:         40
        .size:           2
        .value_kind:     hidden_group_size_z
      - .offset:         42
        .size:           2
        .value_kind:     hidden_remainder_x
      - .offset:         44
        .size:           2
        .value_kind:     hidden_remainder_y
      - .offset:         46
        .size:           2
        .value_kind:     hidden_remainder_z
      - .offset:         64
        .size:           8
        .value_kind:     hidden_global_offset_x
      - .offset:         72
        .size:           8
        .value_kind:     hidden_global_offset_y
      - .offset:         80
        .size:           8
        .value_kind:     hidden_global_offset_z
      - .offset:         88
        .size:           2
        .value_kind:     hidden_grid_dims
    .group_segment_fixed_size: 4112
    .kernarg_segment_align: 8
    .kernarg_segment_size: 280
    .language:       OpenCL C
    .language_version:
      - 2
      - 0
    .max_flat_workgroup_size: 128
    .name:           _Z21sort_key_value_kernelILj128ELj4ELb0ELb0EisEvPT3_PT4_jj
    .private_segment_fixed_size: 0
    .sgpr_count:     30
    .sgpr_spill_count: 0
    .symbol:         _Z21sort_key_value_kernelILj128ELj4ELb0ELb0EisEvPT3_PT4_jj.kd
    .uniform_work_group_size: 1
    .uses_dynamic_stack: false
    .vgpr_count:     66
    .vgpr_spill_count: 0
    .wavefront_size: 32
    .workgroup_processor_mode: 1
  - .args:
      - .address_space:  global
        .offset:         0
        .size:           8
        .value_kind:     global_buffer
      - .address_space:  global
        .offset:         8
        .size:           8
        .value_kind:     global_buffer
      - .offset:         16
        .size:           4
        .value_kind:     by_value
      - .offset:         20
        .size:           4
        .value_kind:     by_value
      - .offset:         24
        .size:           4
        .value_kind:     hidden_block_count_x
      - .offset:         28
        .size:           4
        .value_kind:     hidden_block_count_y
      - .offset:         32
        .size:           4
        .value_kind:     hidden_block_count_z
      - .offset:         36
        .size:           2
        .value_kind:     hidden_group_size_x
      - .offset:         38
        .size:           2
        .value_kind:     hidden_group_size_y
      - .offset:         40
        .size:           2
        .value_kind:     hidden_group_size_z
      - .offset:         42
        .size:           2
        .value_kind:     hidden_remainder_x
      - .offset:         44
        .size:           2
        .value_kind:     hidden_remainder_y
      - .offset:         46
        .size:           2
        .value_kind:     hidden_remainder_z
      - .offset:         64
        .size:           8
        .value_kind:     hidden_global_offset_x
      - .offset:         72
        .size:           8
        .value_kind:     hidden_global_offset_y
      - .offset:         80
        .size:           8
        .value_kind:     hidden_global_offset_z
      - .offset:         88
        .size:           2
        .value_kind:     hidden_grid_dims
    .group_segment_fixed_size: 2064
    .kernarg_segment_align: 8
    .kernarg_segment_size: 280
    .language:       OpenCL C
    .language_version:
      - 2
      - 0
    .max_flat_workgroup_size: 64
    .name:           _Z21sort_key_value_kernelILj64ELj2ELb0ELb1EfcEvPT3_PT4_jj
    .private_segment_fixed_size: 0
    .sgpr_count:     26
    .sgpr_spill_count: 0
    .symbol:         _Z21sort_key_value_kernelILj64ELj2ELb0ELb1EfcEvPT3_PT4_jj.kd
    .uniform_work_group_size: 1
    .uses_dynamic_stack: false
    .vgpr_count:     49
    .vgpr_spill_count: 0
    .wavefront_size: 32
    .workgroup_processor_mode: 1
  - .args:
      - .address_space:  global
        .offset:         0
        .size:           8
        .value_kind:     global_buffer
      - .address_space:  global
        .offset:         8
        .size:           8
        .value_kind:     global_buffer
      - .offset:         16
        .size:           4
        .value_kind:     by_value
      - .offset:         20
        .size:           4
        .value_kind:     by_value
    .group_segment_fixed_size: 8192
    .kernarg_segment_align: 8
    .kernarg_segment_size: 24
    .language:       OpenCL C
    .language_version:
      - 2
      - 0
    .max_flat_workgroup_size: 255
    .name:           _Z21sort_key_value_kernelILj255ELj1ELb0ELb0EhfEvPT3_PT4_jj
    .private_segment_fixed_size: 0
    .sgpr_count:     26
    .sgpr_spill_count: 0
    .symbol:         _Z21sort_key_value_kernelILj255ELj1ELb0ELb0EhfEvPT3_PT4_jj.kd
    .uniform_work_group_size: 1
    .uses_dynamic_stack: false
    .vgpr_count:     27
    .vgpr_spill_count: 0
    .wavefront_size: 32
    .workgroup_processor_mode: 1
  - .args:
      - .address_space:  global
        .offset:         0
        .size:           8
        .value_kind:     global_buffer
      - .address_space:  global
        .offset:         8
        .size:           8
        .value_kind:     global_buffer
      - .offset:         16
        .size:           4
        .value_kind:     by_value
      - .offset:         20
        .size:           4
        .value_kind:     by_value
    .group_segment_fixed_size: 5216
    .kernarg_segment_align: 8
    .kernarg_segment_size: 24
    .language:       OpenCL C
    .language_version:
      - 2
      - 0
    .max_flat_workgroup_size: 162
    .name:           _Z21sort_key_value_kernelILj162ELj1ELb1ELb0EjxEvPT3_PT4_jj
    .private_segment_fixed_size: 0
    .sgpr_count:     28
    .sgpr_spill_count: 0
    .symbol:         _Z21sort_key_value_kernelILj162ELj1ELb1ELb0EjxEvPT3_PT4_jj.kd
    .uniform_work_group_size: 1
    .uses_dynamic_stack: false
    .vgpr_count:     27
    .vgpr_spill_count: 0
    .wavefront_size: 32
    .workgroup_processor_mode: 1
  - .args:
      - .address_space:  global
        .offset:         0
        .size:           8
        .value_kind:     global_buffer
      - .address_space:  global
        .offset:         8
        .size:           8
        .value_kind:     global_buffer
      - .offset:         16
        .size:           4
        .value_kind:     by_value
      - .offset:         20
        .size:           4
        .value_kind:     by_value
    .group_segment_fixed_size: 16384
    .kernarg_segment_align: 8
    .kernarg_segment_size: 24
    .language:       OpenCL C
    .language_version:
      - 2
      - 0
    .max_flat_workgroup_size: 510
    .name:           _Z21sort_key_value_kernelILj510ELj1ELb0ELb1ExcEvPT3_PT4_jj
    .private_segment_fixed_size: 0
    .sgpr_count:     21
    .sgpr_spill_count: 0
    .symbol:         _Z21sort_key_value_kernelILj510ELj1ELb0ELb1ExcEvPT3_PT4_jj.kd
    .uniform_work_group_size: 1
    .uses_dynamic_stack: false
    .vgpr_count:     28
    .vgpr_spill_count: 0
    .wavefront_size: 32
    .workgroup_processor_mode: 1
  - .args:
      - .address_space:  global
        .offset:         0
        .size:           8
        .value_kind:     global_buffer
      - .address_space:  global
        .offset:         8
        .size:           8
        .value_kind:     global_buffer
      - .offset:         16
        .size:           4
        .value_kind:     by_value
      - .offset:         20
        .size:           4
        .value_kind:     by_value
    .group_segment_fixed_size: 1200
    .kernarg_segment_align: 8
    .kernarg_segment_size: 24
    .language:       OpenCL C
    .language_version:
      - 2
      - 0
    .max_flat_workgroup_size: 37
    .name:           _Z21sort_key_value_kernelILj37ELj1ELb0ELb0E6__halfiEvPT3_PT4_jj
    .private_segment_fixed_size: 0
    .sgpr_count:     28
    .sgpr_spill_count: 0
    .symbol:         _Z21sort_key_value_kernelILj37ELj1ELb0ELb0E6__halfiEvPT3_PT4_jj.kd
    .uniform_work_group_size: 1
    .uses_dynamic_stack: false
    .vgpr_count:     26
    .vgpr_spill_count: 0
    .wavefront_size: 32
    .workgroup_processor_mode: 1
  - .args:
      - .address_space:  global
        .offset:         0
        .size:           8
        .value_kind:     global_buffer
      - .address_space:  global
        .offset:         8
        .size:           8
        .value_kind:     global_buffer
      - .offset:         16
        .size:           4
        .value_kind:     by_value
      - .offset:         20
        .size:           4
        .value_kind:     by_value
    .group_segment_fixed_size: 1200
    .kernarg_segment_align: 8
    .kernarg_segment_size: 24
    .language:       OpenCL C
    .language_version:
      - 2
      - 0
    .max_flat_workgroup_size: 37
    .name:           _Z21sort_key_value_kernelILj37ELj1ELb0ELb0E12hip_bfloat16iEvPT3_PT4_jj
    .private_segment_fixed_size: 0
    .sgpr_count:     28
    .sgpr_spill_count: 0
    .symbol:         _Z21sort_key_value_kernelILj37ELj1ELb0ELb0E12hip_bfloat16iEvPT3_PT4_jj.kd
    .uniform_work_group_size: 1
    .uses_dynamic_stack: false
    .vgpr_count:     26
    .vgpr_spill_count: 0
    .wavefront_size: 32
    .workgroup_processor_mode: 1
  - .args:
      - .address_space:  global
        .offset:         0
        .size:           8
        .value_kind:     global_buffer
      - .address_space:  global
        .offset:         8
        .size:           8
        .value_kind:     global_buffer
      - .offset:         16
        .size:           4
        .value_kind:     by_value
      - .offset:         20
        .size:           4
        .value_kind:     by_value
    .group_segment_fixed_size: 1200
    .kernarg_segment_align: 8
    .kernarg_segment_size: 24
    .language:       OpenCL C
    .language_version:
      - 2
      - 0
    .max_flat_workgroup_size: 37
    .name:           _Z21sort_key_value_kernelILj37ELj1ELb0ELb0EfiEvPT3_PT4_jj
    .private_segment_fixed_size: 0
    .sgpr_count:     28
    .sgpr_spill_count: 0
    .symbol:         _Z21sort_key_value_kernelILj37ELj1ELb0ELb0EfiEvPT3_PT4_jj.kd
    .uniform_work_group_size: 1
    .uses_dynamic_stack: false
    .vgpr_count:     24
    .vgpr_spill_count: 0
    .wavefront_size: 32
    .workgroup_processor_mode: 1
  - .args:
      - .address_space:  global
        .offset:         0
        .size:           8
        .value_kind:     global_buffer
      - .address_space:  global
        .offset:         8
        .size:           8
        .value_kind:     global_buffer
      - .offset:         16
        .size:           4
        .value_kind:     by_value
      - .offset:         20
        .size:           4
        .value_kind:     by_value
    .group_segment_fixed_size: 2096
    .kernarg_segment_align: 8
    .kernarg_segment_size: 24
    .language:       OpenCL C
    .language_version:
      - 2
      - 0
    .max_flat_workgroup_size: 65
    .name:           _Z21sort_key_value_kernelILj65ELj1ELb0ELb0EdjEvPT3_PT4_jj
    .private_segment_fixed_size: 0
    .sgpr_count:     31
    .sgpr_spill_count: 0
    .symbol:         _Z21sort_key_value_kernelILj65ELj1ELb0ELb0EdjEvPT3_PT4_jj.kd
    .uniform_work_group_size: 1
    .uses_dynamic_stack: false
    .vgpr_count:     28
    .vgpr_spill_count: 0
    .wavefront_size: 32
    .workgroup_processor_mode: 1
  - .args:
      - .address_space:  global
        .offset:         0
        .size:           8
        .value_kind:     global_buffer
      - .address_space:  global
        .offset:         8
        .size:           8
        .value_kind:     global_buffer
      - .offset:         16
        .size:           4
        .value_kind:     by_value
      - .offset:         20
        .size:           4
        .value_kind:     by_value
      - .offset:         24
        .size:           4
        .value_kind:     hidden_block_count_x
      - .offset:         28
        .size:           4
        .value_kind:     hidden_block_count_y
      - .offset:         32
        .size:           4
        .value_kind:     hidden_block_count_z
      - .offset:         36
        .size:           2
        .value_kind:     hidden_group_size_x
      - .offset:         38
        .size:           2
        .value_kind:     hidden_group_size_y
      - .offset:         40
        .size:           2
        .value_kind:     hidden_group_size_z
      - .offset:         42
        .size:           2
        .value_kind:     hidden_remainder_x
      - .offset:         44
        .size:           2
        .value_kind:     hidden_remainder_y
      - .offset:         46
        .size:           2
        .value_kind:     hidden_remainder_z
      - .offset:         64
        .size:           8
        .value_kind:     hidden_global_offset_x
      - .offset:         72
        .size:           8
        .value_kind:     hidden_global_offset_y
      - .offset:         80
        .size:           8
        .value_kind:     hidden_global_offset_z
      - .offset:         88
        .size:           2
        .value_kind:     hidden_grid_dims
    .group_segment_fixed_size: 32896
    .kernarg_segment_align: 8
    .kernarg_segment_size: 280
    .language:       OpenCL C
    .language_version:
      - 2
      - 0
    .max_flat_workgroup_size: 1024
    .name:           _Z21sort_key_value_kernelILj1024ELj1ELb0ELb1EtcEvPT3_PT4_jj
    .private_segment_fixed_size: 0
    .sgpr_count:     22
    .sgpr_spill_count: 0
    .symbol:         _Z21sort_key_value_kernelILj1024ELj1ELb0ELb1EtcEvPT3_PT4_jj.kd
    .uniform_work_group_size: 1
    .uses_dynamic_stack: false
    .vgpr_count:     31
    .vgpr_spill_count: 0
    .wavefront_size: 32
    .workgroup_processor_mode: 1
  - .args:
      - .address_space:  global
        .offset:         0
        .size:           8
        .value_kind:     global_buffer
      - .address_space:  global
        .offset:         8
        .size:           8
        .value_kind:     global_buffer
      - .offset:         16
        .size:           4
        .value_kind:     by_value
      - .offset:         20
        .size:           4
        .value_kind:     by_value
      - .offset:         24
        .size:           4
        .value_kind:     hidden_block_count_x
      - .offset:         28
        .size:           4
        .value_kind:     hidden_block_count_y
      - .offset:         32
        .size:           4
        .value_kind:     hidden_block_count_z
      - .offset:         36
        .size:           2
        .value_kind:     hidden_group_size_x
      - .offset:         38
        .size:           2
        .value_kind:     hidden_group_size_y
      - .offset:         40
        .size:           2
        .value_kind:     hidden_group_size_z
      - .offset:         42
        .size:           2
        .value_kind:     hidden_remainder_x
      - .offset:         44
        .size:           2
        .value_kind:     hidden_remainder_y
      - .offset:         46
        .size:           2
        .value_kind:     hidden_remainder_z
      - .offset:         64
        .size:           8
        .value_kind:     hidden_global_offset_x
      - .offset:         72
        .size:           8
        .value_kind:     hidden_global_offset_y
      - .offset:         80
        .size:           8
        .value_kind:     hidden_global_offset_z
      - .offset:         88
        .size:           2
        .value_kind:     hidden_grid_dims
    .group_segment_fixed_size: 8224
    .kernarg_segment_align: 8
    .kernarg_segment_size: 280
    .language:       OpenCL C
    .language_version:
      - 2
      - 0
    .max_flat_workgroup_size: 256
    .name:           _Z21sort_key_value_kernelILj256ELj1ELb0ELb0EjiEvPT3_PT4_jj
    .private_segment_fixed_size: 0
    .sgpr_count:     26
    .sgpr_spill_count: 0
    .symbol:         _Z21sort_key_value_kernelILj256ELj1ELb0ELb0EjiEvPT3_PT4_jj.kd
    .uniform_work_group_size: 1
    .uses_dynamic_stack: false
    .vgpr_count:     29
    .vgpr_spill_count: 0
    .wavefront_size: 32
    .workgroup_processor_mode: 1
  - .args:
      - .address_space:  global
        .offset:         0
        .size:           8
        .value_kind:     global_buffer
      - .address_space:  global
        .offset:         8
        .size:           8
        .value_kind:     global_buffer
      - .offset:         16
        .size:           4
        .value_kind:     by_value
      - .offset:         20
        .size:           4
        .value_kind:     by_value
      - .offset:         24
        .size:           4
        .value_kind:     hidden_block_count_x
      - .offset:         28
        .size:           4
        .value_kind:     hidden_block_count_y
      - .offset:         32
        .size:           4
        .value_kind:     hidden_block_count_z
      - .offset:         36
        .size:           2
        .value_kind:     hidden_group_size_x
      - .offset:         38
        .size:           2
        .value_kind:     hidden_group_size_y
      - .offset:         40
        .size:           2
        .value_kind:     hidden_group_size_z
      - .offset:         42
        .size:           2
        .value_kind:     hidden_remainder_x
      - .offset:         44
        .size:           2
        .value_kind:     hidden_remainder_y
      - .offset:         46
        .size:           2
        .value_kind:     hidden_remainder_z
      - .offset:         64
        .size:           8
        .value_kind:     hidden_global_offset_x
      - .offset:         72
        .size:           8
        .value_kind:     hidden_global_offset_y
      - .offset:         80
        .size:           8
        .value_kind:     hidden_global_offset_z
      - .offset:         88
        .size:           2
        .value_kind:     hidden_grid_dims
    .group_segment_fixed_size: 4112
    .kernarg_segment_align: 8
    .kernarg_segment_size: 280
    .language:       OpenCL C
    .language_version:
      - 2
      - 0
    .max_flat_workgroup_size: 128
    .name:           _Z21sort_key_value_kernelILj128ELj1ELb0ELb0EiiEvPT3_PT4_jj
    .private_segment_fixed_size: 0
    .sgpr_count:     24
    .sgpr_spill_count: 0
    .symbol:         _Z21sort_key_value_kernelILj128ELj1ELb0ELb0EiiEvPT3_PT4_jj.kd
    .uniform_work_group_size: 1
    .uses_dynamic_stack: false
    .vgpr_count:     30
    .vgpr_spill_count: 0
    .wavefront_size: 32
    .workgroup_processor_mode: 1
  - .args:
      - .address_space:  global
        .offset:         0
        .size:           8
        .value_kind:     global_buffer
      - .address_space:  global
        .offset:         8
        .size:           8
        .value_kind:     global_buffer
      - .offset:         16
        .size:           4
        .value_kind:     by_value
      - .offset:         20
        .size:           4
        .value_kind:     by_value
      - .offset:         24
        .size:           4
        .value_kind:     hidden_block_count_x
      - .offset:         28
        .size:           4
        .value_kind:     hidden_block_count_y
      - .offset:         32
        .size:           4
        .value_kind:     hidden_block_count_z
      - .offset:         36
        .size:           2
        .value_kind:     hidden_group_size_x
      - .offset:         38
        .size:           2
        .value_kind:     hidden_group_size_y
      - .offset:         40
        .size:           2
        .value_kind:     hidden_group_size_z
      - .offset:         42
        .size:           2
        .value_kind:     hidden_remainder_x
      - .offset:         44
        .size:           2
        .value_kind:     hidden_remainder_y
      - .offset:         46
        .size:           2
        .value_kind:     hidden_remainder_z
      - .offset:         64
        .size:           8
        .value_kind:     hidden_global_offset_x
      - .offset:         72
        .size:           8
        .value_kind:     hidden_global_offset_y
      - .offset:         80
        .size:           8
        .value_kind:     hidden_global_offset_z
      - .offset:         88
        .size:           2
        .value_kind:     hidden_grid_dims
    .group_segment_fixed_size: 2064
    .kernarg_segment_align: 8
    .kernarg_segment_size: 280
    .language:       OpenCL C
    .language_version:
      - 2
      - 0
    .max_flat_workgroup_size: 64
    .name:           _Z21sort_key_value_kernelILj64ELj1ELb0ELb0EjiEvPT3_PT4_jj
    .private_segment_fixed_size: 0
    .sgpr_count:     24
    .sgpr_spill_count: 0
    .symbol:         _Z21sort_key_value_kernelILj64ELj1ELb0ELb0EjiEvPT3_PT4_jj.kd
    .uniform_work_group_size: 1
    .uses_dynamic_stack: false
    .vgpr_count:     29
    .vgpr_spill_count: 0
    .wavefront_size: 32
    .workgroup_processor_mode: 1
  - .args:
      - .address_space:  global
        .offset:         0
        .size:           8
        .value_kind:     global_buffer
      - .address_space:  global
        .offset:         8
        .size:           8
        .value_kind:     global_buffer
      - .offset:         16
        .size:           4
        .value_kind:     by_value
      - .offset:         20
        .size:           4
        .value_kind:     by_value
      - .offset:         24
        .size:           4
        .value_kind:     hidden_block_count_x
      - .offset:         28
        .size:           4
        .value_kind:     hidden_block_count_y
      - .offset:         32
        .size:           4
        .value_kind:     hidden_block_count_z
      - .offset:         36
        .size:           2
        .value_kind:     hidden_group_size_x
      - .offset:         38
        .size:           2
        .value_kind:     hidden_group_size_y
      - .offset:         40
        .size:           2
        .value_kind:     hidden_group_size_z
      - .offset:         42
        .size:           2
        .value_kind:     hidden_remainder_x
      - .offset:         44
        .size:           2
        .value_kind:     hidden_remainder_y
      - .offset:         46
        .size:           2
        .value_kind:     hidden_remainder_z
      - .offset:         64
        .size:           8
        .value_kind:     hidden_global_offset_x
      - .offset:         72
        .size:           8
        .value_kind:     hidden_global_offset_y
      - .offset:         80
        .size:           8
        .value_kind:     hidden_global_offset_z
      - .offset:         88
        .size:           2
        .value_kind:     hidden_grid_dims
    .group_segment_fixed_size: 2064
    .kernarg_segment_align: 8
    .kernarg_segment_size: 280
    .language:       OpenCL C
    .language_version:
      - 2
      - 0
    .max_flat_workgroup_size: 64
    .name:           _Z21sort_key_value_kernelILj64ELj1ELb0ELb0EooEvPT3_PT4_jj
    .private_segment_fixed_size: 0
    .sgpr_count:     24
    .sgpr_spill_count: 0
    .symbol:         _Z21sort_key_value_kernelILj64ELj1ELb0ELb0EooEvPT3_PT4_jj.kd
    .uniform_work_group_size: 1
    .uses_dynamic_stack: false
    .vgpr_count:     42
    .vgpr_spill_count: 0
    .wavefront_size: 32
    .workgroup_processor_mode: 1
  - .args:
      - .address_space:  global
        .offset:         0
        .size:           8
        .value_kind:     global_buffer
      - .address_space:  global
        .offset:         8
        .size:           8
        .value_kind:     global_buffer
      - .offset:         16
        .size:           4
        .value_kind:     by_value
      - .offset:         20
        .size:           4
        .value_kind:     by_value
      - .offset:         24
        .size:           4
        .value_kind:     hidden_block_count_x
      - .offset:         28
        .size:           4
        .value_kind:     hidden_block_count_y
      - .offset:         32
        .size:           4
        .value_kind:     hidden_block_count_z
      - .offset:         36
        .size:           2
        .value_kind:     hidden_group_size_x
      - .offset:         38
        .size:           2
        .value_kind:     hidden_group_size_y
      - .offset:         40
        .size:           2
        .value_kind:     hidden_group_size_z
      - .offset:         42
        .size:           2
        .value_kind:     hidden_remainder_x
      - .offset:         44
        .size:           2
        .value_kind:     hidden_remainder_y
      - .offset:         46
        .size:           2
        .value_kind:     hidden_remainder_z
      - .offset:         64
        .size:           8
        .value_kind:     hidden_global_offset_x
      - .offset:         72
        .size:           8
        .value_kind:     hidden_global_offset_y
      - .offset:         80
        .size:           8
        .value_kind:     hidden_global_offset_z
      - .offset:         88
        .size:           2
        .value_kind:     hidden_grid_dims
    .group_segment_fixed_size: 2064
    .kernarg_segment_align: 8
    .kernarg_segment_size: 280
    .language:       OpenCL C
    .language_version:
      - 2
      - 0
    .max_flat_workgroup_size: 64
    .name:           _Z21sort_key_value_kernelILj64ELj1ELb0ELb0EnnEvPT3_PT4_jj
    .private_segment_fixed_size: 0
    .sgpr_count:     24
    .sgpr_spill_count: 0
    .symbol:         _Z21sort_key_value_kernelILj64ELj1ELb0ELb0EnnEvPT3_PT4_jj.kd
    .uniform_work_group_size: 1
    .uses_dynamic_stack: false
    .vgpr_count:     42
    .vgpr_spill_count: 0
    .wavefront_size: 32
    .workgroup_processor_mode: 1
amdhsa.target:   amdgcn-amd-amdhsa--gfx1100
amdhsa.version:
  - 1
  - 2
...

	.end_amdgpu_metadata
